;; amdgpu-corpus repo=ROCm/rocFFT kind=compiled arch=gfx1201 opt=O3
	.text
	.amdgcn_target "amdgcn-amd-amdhsa--gfx1201"
	.amdhsa_code_object_version 6
	.protected	bluestein_single_back_len320_dim1_sp_op_CI_CI ; -- Begin function bluestein_single_back_len320_dim1_sp_op_CI_CI
	.globl	bluestein_single_back_len320_dim1_sp_op_CI_CI
	.p2align	8
	.type	bluestein_single_back_len320_dim1_sp_op_CI_CI,@function
bluestein_single_back_len320_dim1_sp_op_CI_CI: ; @bluestein_single_back_len320_dim1_sp_op_CI_CI
; %bb.0:
	s_load_b128 s[16:19], s[0:1], 0x28
	v_lshrrev_b32_e32 v39, 4, v0
	v_mov_b32_e32 v43, 0
	s_mov_b32 s2, exec_lo
	s_delay_alu instid0(VALU_DEP_2) | instskip(SKIP_1) | instid1(VALU_DEP_1)
	v_lshl_or_b32 v42, ttmp9, 2, v39
	s_wait_kmcnt 0x0
	v_cmpx_gt_u64_e64 s[16:17], v[42:43]
	s_cbranch_execz .LBB0_2
; %bb.1:
	s_load_b128 s[4:7], s[0:1], 0x18
	v_and_b32_e32 v138, 15, v0
	v_mul_u32_u24_e32 v47, 0x140, v39
	s_wait_kmcnt 0x0
	s_load_b128 s[12:15], s[4:5], 0x0
	s_load_b128 s[8:11], s[0:1], 0x0
	v_lshlrev_b32_e32 v46, 3, v138
	s_load_b64 s[0:1], s[0:1], 0x38
	s_wait_kmcnt 0x0
	v_mad_co_u64_u32 v[1:2], null, s14, v42, 0
	v_mad_co_u64_u32 v[3:4], null, s12, v138, 0
	s_clause 0x3
	global_load_b64 v[48:49], v46, s[8:9]
	global_load_b64 v[50:51], v46, s[8:9] offset:512
	global_load_b64 v[52:53], v46, s[8:9] offset:1024
	;; [unrolled: 1-line block ×3, first 2 shown]
	s_lshl_b64 s[2:3], s[12:13], 8
	s_clause 0x5
	global_load_b64 v[56:57], v46, s[8:9] offset:1536
	global_load_b64 v[58:59], v46, s[8:9] offset:2048
	;; [unrolled: 1-line block ×6, first 2 shown]
	s_mul_i32 s4, s13, 0xfffff780
	v_mad_co_u64_u32 v[5:6], null, s15, v42, v[2:3]
	s_sub_co_i32 s4, s4, s12
	s_delay_alu instid0(VALU_DEP_1) | instskip(SKIP_1) | instid1(VALU_DEP_1)
	v_mad_co_u64_u32 v[6:7], null, s13, v138, v[4:5]
	v_mov_b32_e32 v2, v5
	v_lshlrev_b64_e32 v[1:2], 3, v[1:2]
	s_delay_alu instid0(VALU_DEP_3) | instskip(NEXT) | instid1(VALU_DEP_2)
	v_mov_b32_e32 v4, v6
	v_add_co_u32 v1, vcc_lo, s18, v1
	s_delay_alu instid0(VALU_DEP_2) | instskip(NEXT) | instid1(VALU_DEP_4)
	v_lshlrev_b64_e32 v[3:4], 3, v[3:4]
	v_add_co_ci_u32_e32 v2, vcc_lo, s19, v2, vcc_lo
	s_delay_alu instid0(VALU_DEP_2) | instskip(SKIP_1) | instid1(VALU_DEP_2)
	v_add_co_u32 v1, vcc_lo, v1, v3
	s_wait_alu 0xfffd
	v_add_co_ci_u32_e32 v2, vcc_lo, v2, v4, vcc_lo
	s_delay_alu instid0(VALU_DEP_2) | instskip(SKIP_1) | instid1(VALU_DEP_2)
	v_add_co_u32 v3, vcc_lo, v1, s2
	s_wait_alu 0xfffd
	v_add_co_ci_u32_e32 v4, vcc_lo, s3, v2, vcc_lo
	global_load_b64 v[7:8], v[1:2], off
	v_add_co_u32 v5, vcc_lo, v3, s2
	global_load_b64 v[9:10], v[3:4], off
	s_wait_alu 0xfffd
	v_add_co_ci_u32_e32 v6, vcc_lo, s3, v4, vcc_lo
	v_add_co_u32 v1, vcc_lo, v5, s2
	s_wait_alu 0xfffd
	s_delay_alu instid0(VALU_DEP_2)
	v_add_co_ci_u32_e32 v2, vcc_lo, s3, v6, vcc_lo
	global_load_b64 v[5:6], v[5:6], off
	v_add_co_u32 v3, vcc_lo, v1, s2
	s_wait_alu 0xfffd
	v_add_co_ci_u32_e32 v4, vcc_lo, s3, v2, vcc_lo
	global_load_b64 v[1:2], v[1:2], off
	v_add_co_u32 v11, vcc_lo, v3, s2
	s_wait_alu 0xfffd
	;; [unrolled: 4-line block ×4, first 2 shown]
	v_add_co_ci_u32_e32 v16, vcc_lo, s3, v14, vcc_lo
	s_delay_alu instid0(VALU_DEP_2) | instskip(SKIP_1) | instid1(VALU_DEP_2)
	v_add_co_u32 v17, vcc_lo, v15, s2
	s_wait_alu 0xfffd
	v_add_co_ci_u32_e32 v18, vcc_lo, s3, v16, vcc_lo
	s_delay_alu instid0(VALU_DEP_2) | instskip(SKIP_1) | instid1(VALU_DEP_2)
	v_add_co_u32 v19, vcc_lo, v17, s2
	s_wait_alu 0xfffd
	v_add_co_ci_u32_e32 v20, vcc_lo, s3, v18, vcc_lo
	s_delay_alu instid0(VALU_DEP_1) | instskip(SKIP_1) | instid1(VALU_DEP_1)
	v_mad_co_u64_u32 v[21:22], null, 0xfffff780, s12, v[19:20]
	s_wait_loadcnt 0x5
	v_dual_mul_f32 v89, v7, v49 :: v_dual_add_nc_u32 v22, s4, v22
	v_or_b32_e32 v39, 16, v138
	v_mul_u32_u24_e32 v92, 10, v138
	s_wait_loadcnt 0x4
	v_mul_f32_e32 v91, v9, v67
	s_clause 0x2
	global_load_b64 v[68:69], v46, s[8:9] offset:896
	global_load_b64 v[70:71], v46, s[8:9] offset:768
	;; [unrolled: 1-line block ×3, first 2 shown]
	v_mul_f32_e32 v88, v8, v49
	global_load_b64 v[74:75], v46, s[8:9] offset:1408
	global_load_b64 v[13:14], v[13:14], off
	s_clause 0x1
	global_load_b64 v[76:77], v46, s[8:9] offset:1152
	global_load_b64 v[82:83], v46, s[8:9] offset:1792
	global_load_b64 v[35:36], v[15:16], off
	global_load_b64 v[78:79], v46, s[8:9] offset:1920
	v_add_co_u32 v15, vcc_lo, v21, s2
	s_wait_loadcnt 0xc
	v_dual_fmac_f32 v88, v7, v48 :: v_dual_mul_f32 v7, v6, v51
	s_wait_alu 0xfffd
	v_add_co_ci_u32_e32 v16, vcc_lo, s3, v22, vcc_lo
	global_load_b64 v[31:32], v[17:18], off
	global_load_b64 v[80:81], v46, s[8:9] offset:1664
	v_add_co_u32 v17, vcc_lo, v15, s2
	s_wait_alu 0xfffd
	v_add_co_ci_u32_e32 v18, vcc_lo, s3, v16, vcc_lo
	global_load_b64 v[29:30], v[15:16], off
	v_add_co_u32 v15, vcc_lo, v17, s2
	s_wait_alu 0xfffd
	v_add_co_ci_u32_e32 v16, vcc_lo, s3, v18, vcc_lo
	global_load_b64 v[25:26], v[17:18], off
	;; [unrolled: 4-line block ×4, first 2 shown]
	v_add_co_u32 v21, vcc_lo, v15, s2
	global_load_b64 v[33:34], v[19:20], off
	s_wait_alu 0xfffd
	v_add_co_ci_u32_e32 v22, vcc_lo, s3, v16, vcc_lo
	v_add_co_u32 v37, vcc_lo, v21, s2
	global_load_b64 v[19:20], v[17:18], off
	s_wait_alu 0xfffd
	v_add_co_ci_u32_e32 v38, vcc_lo, s3, v22, vcc_lo
	;; [unrolled: 4-line block ×4, first 2 shown]
	global_load_b64 v[21:22], v[37:38], off
	global_load_b64 v[84:85], v46, s[8:9] offset:2176
	global_load_b64 v[37:38], v[40:41], off
	global_load_b64 v[86:87], v46, s[8:9] offset:2432
	global_load_b64 v[44:45], v[44:45], off
	v_lshl_or_b32 v146, v47, 3, v46
	v_mul_f32_e32 v90, v10, v67
	v_or_b32_e32 v40, v47, v138
	v_fma_f32 v89, v8, v48, -v89
	v_mul_f32_e32 v8, v5, v51
	v_add_nc_u32_e32 v148, 0x800, v146
	s_delay_alu instid0(VALU_DEP_4)
	v_dual_fmac_f32 v90, v9, v66 :: v_dual_lshlrev_b32 v147, 3, v40
	v_fmac_f32_e32 v7, v5, v50
	v_fma_f32 v91, v10, v66, -v91
	s_load_b128 s[4:7], s[6:7], 0x0
	v_mul_u32_u24_e32 v93, 10, v39
	v_add_lshl_u32 v150, v47, v92, 3
	v_cmp_gt_u32_e32 vcc_lo, 10, v138
	s_add_nc_u64 s[2:3], s[8:9], 0xa00
	s_delay_alu instid0(VALU_DEP_3)
	v_add_lshl_u32 v145, v47, v93, 3
	s_wait_kmcnt 0x0
	v_mad_co_u64_u32 v[40:41], null, s6, v42, 0
	s_wait_loadcnt 0x16
	v_mul_f32_e32 v9, v2, v71
	v_mul_f32_e32 v5, v1, v71
	s_delay_alu instid0(VALU_DEP_2) | instskip(SKIP_1) | instid1(VALU_DEP_3)
	v_fmac_f32_e32 v9, v1, v70
	v_mul_f32_e32 v1, v4, v53
	v_fma_f32 v10, v2, v70, -v5
	v_mul_f32_e32 v5, v12, v55
	ds_store_b64 v147, v[88:89]
	ds_store_b64 v147, v[90:91] offset:256
	v_mul_f32_e32 v88, v11, v55
	v_fmac_f32_e32 v1, v3, v52
	v_fma_f32 v8, v6, v50, -v8
	v_mul_f32_e32 v6, v3, v53
	s_wait_loadcnt 0x13
	v_mul_f32_e32 v3, v14, v57
	v_fmac_f32_e32 v5, v11, v54
	ds_store_b64 v146, v[9:10] offset:768
	ds_store_b64 v146, v[7:8] offset:512
	s_wait_loadcnt 0xc
	v_mul_f32_e32 v8, v29, v63
	v_fmac_f32_e32 v3, v13, v56
	v_fma_f32 v2, v4, v52, -v6
	v_mul_f32_e32 v4, v13, v57
	v_fma_f32 v6, v12, v54, -v88
	ds_store_b64 v146, v[1:2] offset:1024
	ds_store_b64 v146, v[5:6] offset:1280
	v_mul_f32_e32 v1, v36, v83
	v_mul_f32_e32 v2, v35, v83
	v_fma_f32 v4, v14, v56, -v4
	v_mul_f32_e32 v5, v32, v59
	v_mul_f32_e32 v7, v30, v63
	v_fmac_f32_e32 v1, v35, v82
	v_fma_f32 v2, v36, v82, -v2
	ds_store_b64 v146, v[3:4] offset:1536
	s_wait_loadcnt 0x8
	v_dual_mul_f32 v3, v34, v61 :: v_dual_mul_f32 v6, v31, v59
	v_dual_mul_f32 v4, v33, v61 :: v_dual_fmac_f32 v5, v31, v58
	v_fmac_f32_e32 v7, v29, v62
	s_delay_alu instid0(VALU_DEP_3) | instskip(NEXT) | instid1(VALU_DEP_4)
	v_fmac_f32_e32 v3, v33, v60
	v_fma_f32 v6, v32, v58, -v6
	ds_store_b64 v146, v[1:2] offset:1792
	v_mul_f32_e32 v1, v28, v65
	v_mul_f32_e32 v2, v27, v65
	v_fma_f32 v4, v34, v60, -v4
	ds_store_b64 v146, v[5:6] offset:2048
	v_fma_f32 v8, v30, v62, -v8
	v_fmac_f32_e32 v1, v27, v64
	v_fma_f32 v2, v28, v64, -v2
	ds_store_b64 v146, v[3:4] offset:2304
	s_wait_loadcnt 0x2
	v_mul_f32_e32 v10, v37, v85
	v_mul_f32_e32 v3, v25, v73
	;; [unrolled: 1-line block ×4, first 2 shown]
	ds_store_b64 v147, v[1:2] offset:128
	ds_store_b64 v147, v[7:8] offset:384
	v_mul_f32_e32 v1, v24, v69
	v_mul_f32_e32 v2, v23, v69
	v_fma_f32 v6, v26, v72, -v3
	v_mul_f32_e32 v3, v20, v77
	v_fmac_f32_e32 v5, v25, v72
	v_fmac_f32_e32 v1, v23, v68
	v_fma_f32 v2, v24, v68, -v2
	v_fma_f32 v4, v20, v76, -v4
	v_fmac_f32_e32 v3, v19, v76
	ds_store_b64 v146, v[5:6] offset:640
	v_mul_f32_e32 v5, v18, v75
	v_mul_f32_e32 v6, v17, v75
	ds_store_b64 v146, v[1:2] offset:896
	ds_store_b64 v146, v[3:4] offset:1152
	v_mul_f32_e32 v1, v16, v81
	v_dual_mul_f32 v2, v15, v81 :: v_dual_mul_f32 v7, v22, v79
	v_dual_mul_f32 v4, v21, v79 :: v_dual_mul_f32 v3, v38, v85
	s_wait_loadcnt 0x0
	v_mul_f32_e32 v9, v45, v87
	v_mul_f32_e32 v11, v44, v87
	v_fmac_f32_e32 v5, v17, v74
	v_fma_f32 v6, v18, v74, -v6
	v_fmac_f32_e32 v1, v15, v80
	v_fma_f32 v2, v16, v80, -v2
	;; [unrolled: 2-line block ×5, first 2 shown]
	ds_store_b64 v146, v[5:6] offset:1408
	ds_store_b64 v146, v[1:2] offset:1664
	;; [unrolled: 1-line block ×5, first 2 shown]
	global_wb scope:SCOPE_SE
	s_wait_dscnt 0x0
	s_barrier_signal -1
	s_barrier_wait -1
	global_inv scope:SCOPE_SE
	ds_load_2addr_b64 v[1:4], v147 offset1:16
	ds_load_2addr_b64 v[5:8], v146 offset0:64 offset1:80
	ds_load_2addr_b64 v[9:12], v146 offset0:128 offset1:144
	;; [unrolled: 1-line block ×3, first 2 shown]
	ds_load_2addr_b64 v[17:20], v148 offset1:16
	v_mov_b32_e32 v21, v41
	s_delay_alu instid0(VALU_DEP_1)
	v_mad_co_u64_u32 v[41:42], null, s7, v42, v[21:22]
	ds_load_2addr_b64 v[21:24], v147 offset0:32 offset1:48
	ds_load_2addr_b64 v[25:28], v146 offset0:96 offset1:112
	;; [unrolled: 1-line block ×5, first 2 shown]
	v_or_b32_e32 v42, 32, v138
	global_wb scope:SCOPE_SE
	s_wait_dscnt 0x0
	s_barrier_signal -1
	s_barrier_wait -1
	global_inv scope:SCOPE_SE
	v_lshlrev_b64_e32 v[40:41], 3, v[40:41]
	v_dual_add_f32 v37, v1, v5 :: v_dual_add_f32 v120, v3, v7
	v_add_f32_e32 v38, v9, v13
	v_add_f32_e32 v94, v5, v17
	v_sub_f32_e32 v44, v6, v18
	v_dual_sub_f32 v45, v10, v14 :: v_dual_sub_f32 v122, v8, v20
	v_sub_f32_e32 v92, v5, v9
	v_dual_sub_f32 v93, v17, v13 :: v_dual_sub_f32 v124, v7, v11
	v_dual_sub_f32 v95, v9, v5 :: v_dual_add_f32 v126, v7, v19
	v_dual_sub_f32 v96, v13, v17 :: v_dual_add_f32 v97, v2, v6
	v_sub_f32_e32 v128, v15, v19
	v_dual_add_f32 v98, v10, v14 :: v_dual_sub_f32 v5, v5, v17
	v_dual_add_f32 v130, v12, v16 :: v_dual_sub_f32 v99, v9, v13
	v_sub_f32_e32 v132, v8, v12
	v_sub_f32_e32 v100, v6, v10
	v_dual_sub_f32 v101, v18, v14 :: v_dual_add_f32 v134, v8, v20
	v_add_f32_e32 v102, v6, v18
	v_sub_f32_e32 v6, v10, v6
	v_dual_sub_f32 v103, v14, v18 :: v_dual_add_f32 v104, v21, v25
	v_dual_add_f32 v105, v29, v33 :: v_dual_add_f32 v136, v23, v27
	v_dual_add_f32 v110, v25, v88 :: v_dual_add_f32 v113, v22, v26
	v_add_f32_e32 v152, v32, v36
	v_add_f32_e32 v114, v30, v34
	v_dual_add_f32 v118, v26, v89 :: v_dual_add_f32 v121, v11, v15
	v_add_f32_e32 v129, v4, v8
	v_add_f32_e32 v9, v37, v9
	v_fma_f32 v37, -0.5, v38, v1
	v_fma_f32 v1, -0.5, v94, v1
	v_sub_f32_e32 v106, v26, v89
	v_dual_sub_f32 v107, v30, v34 :: v_dual_sub_f32 v140, v32, v36
	v_sub_f32_e32 v108, v25, v29
	v_dual_sub_f32 v109, v88, v33 :: v_dual_sub_f32 v142, v90, v35
	v_dual_sub_f32 v111, v29, v25 :: v_dual_sub_f32 v144, v31, v27
	v_sub_f32_e32 v112, v33, v88
	v_dual_sub_f32 v25, v25, v88 :: v_dual_add_f32 v156, v28, v91
	v_dual_sub_f32 v115, v29, v33 :: v_dual_sub_f32 v154, v28, v32
	v_sub_f32_e32 v116, v26, v30
	v_sub_f32_e32 v117, v89, v34
	;; [unrolled: 1-line block ×4, first 2 shown]
	v_dual_sub_f32 v123, v12, v16 :: v_dual_add_f32 v10, v97, v10
	v_dual_sub_f32 v125, v19, v15 :: v_dual_add_f32 v94, v100, v101
	v_sub_f32_e32 v127, v11, v7
	v_dual_sub_f32 v7, v7, v19 :: v_dual_add_f32 v30, v113, v30
	v_dual_sub_f32 v8, v12, v8 :: v_dual_add_f32 v137, v31, v35
	v_add_f32_e32 v151, v24, v28
	v_dual_sub_f32 v155, v91, v36 :: v_dual_add_f32 v10, v10, v14
	v_add_f32_e32 v38, v92, v93
	v_add_f32_e32 v92, v95, v96
	v_dual_sub_f32 v133, v20, v16 :: v_dual_add_f32 v26, v26, v119
	v_fma_f32 v93, -0.5, v98, v2
	v_fma_f32 v2, -0.5, v102, v2
	v_add_f32_e32 v6, v6, v103
	v_dual_sub_f32 v139, v28, v91 :: v_dual_add_f32 v12, v129, v12
	v_sub_f32_e32 v28, v32, v28
	v_add_f32_e32 v29, v104, v29
	v_fma_f32 v95, -0.5, v105, v21
	v_fma_f32 v21, -0.5, v110, v21
	;; [unrolled: 1-line block ×6, first 2 shown]
	v_dual_fmamk_f32 v114, v45, 0xbf737871, v1 :: v_dual_sub_f32 v157, v36, v91
	v_add_f32_e32 v32, v151, v32
	v_dual_sub_f32 v131, v11, v15 :: v_dual_add_f32 v100, v116, v117
	v_dual_sub_f32 v135, v16, v20 :: v_dual_fmac_f32 v4, -0.5, v134
	v_add_f32_e32 v143, v27, v90
	v_sub_f32_e32 v149, v35, v90
	v_dual_sub_f32 v153, v31, v35 :: v_dual_add_f32 v28, v28, v157
	v_dual_add_f32 v96, v108, v109 :: v_dual_add_f32 v97, v111, v112
	v_dual_add_f32 v14, v30, v34 :: v_dual_add_f32 v11, v120, v11
	v_fmamk_f32 v30, v25, 0xbf737871, v98
	v_add_f32_e32 v102, v124, v125
	v_fma_f32 v3, -0.5, v126, v3
	v_dual_add_f32 v103, v127, v128 :: v_dual_fmac_f32 v98, 0x3f737871, v25
	v_dual_add_f32 v105, v132, v133 :: v_dual_fmamk_f32 v34, v115, 0x3f737871, v22
	v_fma_f32 v108, -0.5, v137, v23
	v_fma_f32 v111, -0.5, v152, v24
	v_add_f32_e32 v112, v154, v155
	v_dual_sub_f32 v141, v27, v31 :: v_dual_add_f32 v110, v144, v149
	v_dual_sub_f32 v27, v27, v90 :: v_dual_fmac_f32 v24, -0.5, v156
	v_dual_add_f32 v31, v136, v31 :: v_dual_fmamk_f32 v118, v122, 0x3f737871, v101
	v_fmamk_f32 v113, v44, 0x3f737871, v37
	v_dual_fmac_f32 v37, 0xbf737871, v44 :: v_dual_fmamk_f32 v120, v7, 0xbf737871, v104
	v_fmac_f32_e32 v1, 0x3f737871, v45
	v_fmamk_f32 v116, v5, 0xbf737871, v93
	v_dual_fmamk_f32 v117, v99, 0x3f737871, v2 :: v_dual_add_f32 v10, v10, v18
	v_dual_fmac_f32 v2, 0xbf737871, v99 :: v_dual_add_f32 v9, v9, v13
	v_dual_add_f32 v12, v12, v16 :: v_dual_add_f32 v13, v29, v33
	v_fmamk_f32 v29, v106, 0x3f737871, v95
	v_fmac_f32_e32 v95, 0xbf737871, v106
	v_fmamk_f32 v33, v107, 0xbf737871, v21
	v_fmac_f32_e32 v104, 0x3f737871, v7
	v_dual_add_f32 v8, v8, v135 :: v_dual_add_f32 v109, v141, v142
	v_fmac_f32_e32 v22, 0xbf737871, v115
	v_fma_f32 v23, -0.5, v143, v23
	v_dual_fmac_f32 v93, 0x3f737871, v5 :: v_dual_add_f32 v32, v32, v36
	v_dual_fmac_f32 v21, 0x3f737871, v107 :: v_dual_add_f32 v14, v14, v89
	v_dual_add_f32 v11, v11, v15 :: v_dual_fmac_f32 v114, 0x3f167918, v44
	v_dual_fmac_f32 v101, 0xbf737871, v122 :: v_dual_add_f32 v18, v12, v20
	v_fmamk_f32 v119, v123, 0xbf737871, v3
	v_fmamk_f32 v121, v131, 0x3f737871, v4
	v_fmac_f32_e32 v4, 0xbf737871, v131
	v_dual_add_f32 v15, v31, v35 :: v_dual_fmac_f32 v2, 0x3f167918, v5
	v_fmamk_f32 v16, v139, 0x3f737871, v108
	v_fmac_f32_e32 v108, 0xbf737871, v139
	v_fmamk_f32 v36, v153, 0x3f737871, v24
	v_fmac_f32_e32 v24, 0xbf737871, v153
	v_dual_add_f32 v9, v9, v17 :: v_dual_fmac_f32 v116, 0xbf167918, v99
	v_dual_fmac_f32 v113, 0x3f167918, v45 :: v_dual_fmac_f32 v98, 0x3f167918, v115
	v_dual_fmac_f32 v37, 0xbf167918, v45 :: v_dual_fmac_f32 v30, 0xbf167918, v115
	v_dual_fmac_f32 v1, 0xbf167918, v44 :: v_dual_fmac_f32 v34, 0xbf167918, v25
	v_dual_fmac_f32 v117, 0xbf167918, v5 :: v_dual_fmac_f32 v120, 0xbf167918, v131
	v_dual_add_f32 v13, v13, v88 :: v_dual_fmac_f32 v118, 0x3f167918, v123
	v_dual_fmac_f32 v29, 0x3f167918, v107 :: v_dual_fmac_f32 v16, 0x3f167918, v140
	v_dual_fmac_f32 v95, 0xbf167918, v107 :: v_dual_fmac_f32 v108, 0xbf167918, v140
	;; [unrolled: 1-line block ×5, first 2 shown]
	v_fmac_f32_e32 v4, 0x3f167918, v7
	v_fmac_f32_e32 v24, 0x3f167918, v27
	v_dual_fmac_f32 v37, 0x3e9e377a, v38 :: v_dual_fmac_f32 v98, 0x3e9e377a, v100
	v_dual_fmac_f32 v1, 0x3e9e377a, v92 :: v_dual_fmac_f32 v2, 0x3e9e377a, v6
	v_fmac_f32_e32 v116, 0x3e9e377a, v94
	v_dual_fmac_f32 v117, 0x3e9e377a, v6 :: v_dual_fmac_f32 v104, 0x3e9e377a, v105
	v_fmac_f32_e32 v121, 0xbf167918, v7
	v_add_f32_e32 v7, v15, v90
	v_add_f32_e32 v15, v32, v91
	v_fmamk_f32 v31, v140, 0xbf737871, v23
	v_dual_fmac_f32 v29, 0x3e9e377a, v96 :: v_dual_fmac_f32 v34, 0x3e9e377a, v26
	v_fmac_f32_e32 v101, 0xbf167918, v123
	v_dual_fmac_f32 v95, 0x3e9e377a, v96 :: v_dual_fmac_f32 v22, 0x3e9e377a, v26
	v_dual_fmac_f32 v33, 0x3e9e377a, v97 :: v_dual_fmac_f32 v118, 0x3e9e377a, v102
	v_dual_fmamk_f32 v35, v27, 0xbf737871, v111 :: v_dual_add_f32 v6, v10, v14
	v_fmac_f32_e32 v119, 0x3f167918, v122
	v_dual_fmac_f32 v3, 0x3f737871, v123 :: v_dual_sub_f32 v12, v10, v14
	v_dual_add_f32 v17, v11, v19 :: v_dual_fmac_f32 v114, 0x3e9e377a, v92
	v_dual_fmac_f32 v21, 0x3e9e377a, v97 :: v_dual_fmac_f32 v4, 0x3e9e377a, v8
	v_dual_add_f32 v5, v9, v13 :: v_dual_fmac_f32 v36, 0x3e9e377a, v28
	v_dual_sub_f32 v11, v9, v13 :: v_dual_fmac_f32 v24, 0x3e9e377a, v28
	v_fmac_f32_e32 v16, 0x3e9e377a, v109
	v_sub_f32_e32 v20, v18, v15
	v_mul_f32_e32 v26, 0xbf4f1bbd, v95
	v_fmac_f32_e32 v31, 0x3f167918, v139
	v_mul_f32_e32 v28, 0xbf167918, v29
	v_fmac_f32_e32 v101, 0x3e9e377a, v102
	v_mul_f32_e32 v32, 0xbf737871, v33
	v_mul_f32_e32 v44, 0xbf4f1bbd, v98
	v_fmac_f32_e32 v35, 0xbf167918, v153
	v_fmac_f32_e32 v3, 0xbf167918, v122
	v_dual_fmac_f32 v93, 0x3e9e377a, v94 :: v_dual_fmac_f32 v120, 0x3e9e377a, v105
	v_add_f32_e32 v13, v17, v7
	v_add_f32_e32 v14, v18, v15
	v_mul_f32_e32 v18, 0xbe9e377a, v21
	v_mul_f32_e32 v94, 0xbf167918, v16
	v_fmac_f32_e32 v26, 0x3f167918, v98
	v_fmac_f32_e32 v31, 0x3e9e377a, v110
	;; [unrolled: 1-line block ×4, first 2 shown]
	v_dual_fmac_f32 v23, 0x3f737871, v140 :: v_dual_fmac_f32 v18, 0x3f737871, v22
	v_mul_f32_e32 v45, 0x3f4f1bbd, v16
	v_mul_f32_e32 v89, 0x3f737871, v36
	;; [unrolled: 1-line block ×3, first 2 shown]
	v_fmac_f32_e32 v94, 0x3f4f1bbd, v35
	v_dual_fmac_f32 v113, 0x3e9e377a, v38 :: v_dual_fmac_f32 v30, 0x3e9e377a, v100
	v_dual_fmac_f32 v119, 0x3e9e377a, v103 :: v_dual_fmac_f32 v108, 0x3e9e377a, v109
	v_dual_sub_f32 v19, v17, v7 :: v_dual_mul_f32 v38, 0xbe9e377a, v22
	v_dual_fmac_f32 v96, 0x3e9e377a, v36 :: v_dual_fmac_f32 v89, 0x3e9e377a, v31
	v_dual_add_f32 v16, v120, v94 :: v_dual_fmac_f32 v45, 0x3f167918, v35
	v_dual_fmac_f32 v3, 0x3e9e377a, v103 :: v_dual_fmac_f32 v32, 0x3e9e377a, v34
	s_delay_alu instid0(VALU_DEP_3) | instskip(NEXT) | instid1(VALU_DEP_3)
	v_dual_sub_f32 v90, v119, v89 :: v_dual_mul_f32 v97, 0xbe9e377a, v24
	v_sub_f32_e32 v88, v118, v45
	v_fmac_f32_e32 v38, 0xbf737871, v21
	v_fmac_f32_e32 v23, 0xbf167918, v139
	v_dual_mul_f32 v15, 0x3f4f1bbd, v29 :: v_dual_fmac_f32 v28, 0x3f4f1bbd, v30
	v_fmac_f32_e32 v111, 0x3f737871, v27
	v_add_f32_e32 v9, v37, v26
	s_delay_alu instid0(VALU_DEP_4) | instskip(NEXT) | instid1(VALU_DEP_4)
	v_dual_fmac_f32 v23, 0x3e9e377a, v110 :: v_dual_add_f32 v22, v117, v32
	v_dual_sub_f32 v31, v37, v26 :: v_dual_sub_f32 v26, v116, v28
	s_delay_alu instid0(VALU_DEP_2) | instskip(SKIP_2) | instid1(VALU_DEP_3)
	v_dual_add_f32 v10, v93, v44 :: v_dual_fmac_f32 v97, 0xbf737871, v23
	v_fmac_f32_e32 v121, 0x3e9e377a, v8
	v_dual_add_f32 v8, v116, v28 :: v_dual_fmac_f32 v111, 0x3f167918, v153
	v_dual_mul_f32 v91, 0xbe9e377a, v23 :: v_dual_add_f32 v36, v4, v97
	v_dual_mul_f32 v17, 0x3f737871, v34 :: v_dual_sub_f32 v28, v117, v32
	s_delay_alu instid0(VALU_DEP_3) | instskip(SKIP_3) | instid1(VALU_DEP_4)
	v_fmac_f32_e32 v111, 0x3e9e377a, v112
	v_fmac_f32_e32 v15, 0x3f167918, v30
	v_mul_f32_e32 v92, 0xbf4f1bbd, v108
	v_sub_f32_e32 v32, v93, v44
	v_dual_sub_f32 v30, v2, v38 :: v_dual_mul_f32 v99, 0xbf4f1bbd, v111
	s_delay_alu instid0(VALU_DEP_4) | instskip(NEXT) | instid1(VALU_DEP_4)
	v_add_f32_e32 v7, v113, v15
	v_fmac_f32_e32 v92, 0x3f167918, v111
	v_dual_fmac_f32 v17, 0x3e9e377a, v33 :: v_dual_add_f32 v34, v121, v96
	s_delay_alu instid0(VALU_DEP_4)
	v_fmac_f32_e32 v99, 0xbf167918, v108
	v_fmac_f32_e32 v91, 0x3f737871, v24
	v_add_f32_e32 v23, v1, v18
	v_add_f32_e32 v24, v2, v38
	v_dual_sub_f32 v29, v1, v18 :: v_dual_sub_f32 v2, v4, v97
	v_sub_f32_e32 v4, v104, v99
	v_add_f32_e32 v35, v3, v91
	v_sub_f32_e32 v1, v3, v91
	v_sub_f32_e32 v3, v101, v92
	v_add_f32_e32 v21, v114, v17
	v_sub_f32_e32 v25, v113, v15
	v_sub_f32_e32 v27, v114, v17
	v_add_f32_e32 v15, v118, v45
	v_add_f32_e32 v33, v119, v89
	v_dual_add_f32 v17, v101, v92 :: v_dual_add_f32 v18, v104, v99
	v_sub_f32_e32 v89, v120, v94
	v_sub_f32_e32 v91, v121, v96
	ds_store_b128 v150, v[5:8]
	ds_store_b128 v150, v[21:24] offset:16
	ds_store_b128 v150, v[9:12] offset:32
	;; [unrolled: 1-line block ×4, first 2 shown]
	ds_store_b128 v145, v[13:16]
	ds_store_b128 v145, v[33:36] offset:16
	ds_store_b128 v145, v[17:20] offset:32
	;; [unrolled: 1-line block ×3, first 2 shown]
	v_mul_lo_u16 v5, v39, 26
	ds_store_b128 v145, v[1:4] offset:64
	v_mul_lo_u16 v2, v42, 26
	v_or_b32_e32 v4, 48, v0
	v_add_nc_u32_e32 v1, -10, v138
	v_lshrrev_b16 v22, 8, v5
	v_or_b32_e32 v5, 64, v138
	v_lshrrev_b16 v25, 8, v2
	v_mul_lo_u16 v2, v4, 26
	s_wait_alu 0xfffd
	v_cndmask_b32_e32 v23, v1, v138, vcc_lo
	v_mul_lo_u16 v1, v22, 10
	v_mul_lo_u16 v7, 0x67, v5
	;; [unrolled: 1-line block ×3, first 2 shown]
	v_lshrrev_b16 v26, 8, v2
	v_mul_i32_i24_e32 v0, 24, v23
	v_mul_hi_i32_i24_e32 v3, 24, v23
	v_sub_nc_u16 v24, v39, v1
	v_sub_nc_u16 v6, v42, v6
	v_mul_lo_u16 v8, v26, 10
	v_lshrrev_b16 v27, 10, v7
	v_add_co_u32 v0, vcc_lo, s10, v0
	s_wait_alu 0xfffd
	v_add_co_ci_u32_e32 v1, vcc_lo, s11, v3, vcc_lo
	v_and_b32_e32 v3, 0xff, v24
	v_and_b32_e32 v28, 0xff, v6
	v_sub_nc_u16 v4, v4, v8
	v_mul_lo_u16 v6, v27, 10
	global_wb scope:SCOPE_SE
	s_wait_dscnt 0x0
	v_mad_co_u64_u32 v[2:3], null, v3, 24, s[10:11]
	v_and_b32_e32 v29, 0xff, v4
	v_sub_nc_u16 v4, v5, v6
	s_barrier_signal -1
	s_barrier_wait -1
	global_inv scope:SCOPE_SE
	s_clause 0x1
	global_load_b64 v[92:93], v[0:1], off offset:16
	global_load_b128 v[16:19], v[0:1], off
	v_and_b32_e32 v30, 0xff, v4
	s_clause 0x1
	global_load_b128 v[8:11], v[2:3], off
	global_load_b64 v[96:97], v[2:3], off offset:16
	v_mad_co_u64_u32 v[0:1], null, v28, 24, s[10:11]
	v_mad_co_u64_u32 v[2:3], null, v29, 24, s[10:11]
	;; [unrolled: 1-line block ×3, first 2 shown]
	s_clause 0x5
	global_load_b128 v[12:15], v[0:1], off
	global_load_b64 v[94:95], v[0:1], off offset:16
	global_load_b128 v[4:7], v[2:3], off
	global_load_b64 v[90:91], v[2:3], off offset:16
	global_load_b128 v[0:3], v[20:21], off
	global_load_b64 v[88:89], v[20:21], off offset:16
	v_cmp_lt_u32_e32 vcc_lo, 9, v138
	v_and_b32_e32 v21, 0xffff, v26
	v_add_nc_u32_e32 v26, -8, v138
	v_add_nc_u32_e32 v149, 0x800, v147
	v_mad_co_u64_u32 v[44:45], null, v138, 24, s[10:11]
	s_wait_alu 0xfffd
	v_cndmask_b32_e64 v20, 0, 40, vcc_lo
	v_mul_u32_u24_e32 v21, 40, v21
	v_cmp_gt_u64_e32 vcc_lo, 40, v[42:43]
	s_delay_alu instid0(VALU_DEP_3) | instskip(SKIP_3) | instid1(VALU_DEP_3)
	v_add_nc_u32_e32 v20, v23, v20
	v_and_b32_e32 v23, 0xffff, v27
	s_wait_alu 0xfffd
	v_dual_cndmask_b32 v118, v26, v42 :: v_dual_add_nc_u32 v21, v21, v29
	v_add_lshl_u32 v151, v47, v20, 3
	v_mad_u16 v20, v22, 40, v24
	v_and_b32_e32 v22, 0xffff, v25
	v_mul_u32_u24_e32 v23, 40, v23
	v_add_lshl_u32 v152, v47, v21, 3
	ds_load_2addr_b64 v[24:27], v147 offset0:160 offset1:176
	v_and_b32_e32 v32, 0xff, v20
	v_mul_u32_u24_e32 v29, 40, v22
	v_add_nc_u32_e32 v36, v23, v30
	ds_load_2addr_b64 v[20:23], v147 offset0:64 offset1:80
	v_mul_i32_i24_e32 v119, 24, v118
	v_add_lshl_u32 v154, v47, v32, 3
	v_add_nc_u32_e32 v37, v29, v28
	ds_load_2addr_b64 v[28:31], v147 offset0:224 offset1:240
	ds_load_2addr_b64 v[32:35], v147 offset0:96 offset1:112
	v_add_lshl_u32 v153, v47, v36, 3
	v_add_lshl_u32 v155, v47, v37, 3
	ds_load_2addr_b64 v[36:39], v149 offset1:16
	ds_load_2addr_b64 v[98:101], v147 offset1:16
	ds_load_2addr_b64 v[102:105], v147 offset0:32 offset1:48
	ds_load_2addr_b64 v[106:109], v147 offset0:192 offset1:208
	;; [unrolled: 1-line block ×4, first 2 shown]
	global_wb scope:SCOPE_SE
	s_wait_loadcnt_dscnt 0x0
	s_barrier_signal -1
	s_barrier_wait -1
	global_inv scope:SCOPE_SE
	v_mul_f32_e32 v124, v31, v93
	v_mul_f32_e32 v120, v23, v17
	v_dual_mul_f32 v121, v22, v17 :: v_dual_mul_f32 v122, v25, v19
	v_mul_f32_e32 v126, v33, v9
	v_mul_f32_e32 v130, v37, v97
	s_delay_alu instid0(VALU_DEP_4)
	v_fma_f32 v22, v22, v16, -v120
	v_mul_f32_e32 v128, v27, v11
	v_dual_mul_f32 v140, v110, v5 :: v_dual_mul_f32 v123, v24, v19
	v_dual_mul_f32 v142, v108, v7 :: v_dual_mul_f32 v125, v30, v93
	v_mul_f32_e32 v134, v107, v15
	v_dual_mul_f32 v158, v29, v3 :: v_dual_fmac_f32 v121, v23, v16
	v_fma_f32 v23, v24, v18, -v122
	v_fma_f32 v24, v30, v92, -v124
	v_dual_fmac_f32 v140, v111, v4 :: v_dual_fmac_f32 v123, v25, v18
	v_fma_f32 v25, v32, v8, -v126
	v_dual_mul_f32 v131, v36, v97 :: v_dual_fmac_f32 v142, v109, v6
	v_fmac_f32_e32 v125, v31, v92
	v_mul_f32_e32 v129, v26, v11
	v_fma_f32 v31, v106, v14, -v134
	s_delay_alu instid0(VALU_DEP_4)
	v_fmac_f32_e32 v131, v37, v96
	v_sub_f32_e32 v37, v98, v23
	v_dual_sub_f32 v23, v22, v24 :: v_dual_sub_f32 v24, v121, v125
	v_fmac_f32_e32 v129, v27, v10
	v_dual_mul_f32 v135, v106, v15 :: v_dual_mul_f32 v132, v35, v13
	v_mul_f32_e32 v156, v113, v1
	v_mul_f32_e32 v144, v114, v91
	s_delay_alu instid0(VALU_DEP_3)
	v_dual_sub_f32 v106, v101, v129 :: v_dual_fmac_f32 v135, v107, v14
	v_sub_f32_e32 v107, v102, v31
	v_mul_f32_e32 v141, v109, v7
	v_mul_f32_e32 v161, v116, v89
	v_fma_f32 v27, v36, v96, -v130
	v_fma_f32 v30, v34, v12, -v132
	;; [unrolled: 1-line block ×3, first 2 shown]
	v_dual_mul_f32 v133, v34, v13 :: v_dual_add_nc_u32 v156, 0x400, v147
	v_fma_f32 v34, v108, v6, -v141
	v_sub_f32_e32 v108, v103, v135
	v_mul_f32_e32 v136, v39, v95
	v_fmac_f32_e32 v144, v115, v90
	v_fmac_f32_e32 v133, v35, v12
	v_mul_f32_e32 v143, v115, v91
	v_sub_f32_e32 v109, v104, v34
	v_fma_f32 v115, v98, 2.0, -v37
	v_fma_f32 v98, v22, 2.0, -v23
	v_sub_f32_e32 v22, v37, v24
	v_fmac_f32_e32 v161, v117, v88
	v_mul_f32_e32 v159, v28, v3
	v_mul_f32_e32 v127, v32, v9
	;; [unrolled: 1-line block ×3, first 2 shown]
	v_fma_f32 v32, v38, v94, -v136
	v_sub_f32_e32 v38, v99, v123
	v_fma_f32 v123, v104, 2.0, -v109
	v_fmac_f32_e32 v159, v29, v2
	v_mul_f32_e32 v157, v112, v1
	v_fma_f32 v35, v114, v90, -v143
	v_mul_f32_e32 v139, v111, v5
	v_fma_f32 v28, v28, v2, -v158
	v_sub_f32_e32 v112, v21, v159
	v_fmac_f32_e32 v157, v113, v0
	v_mul_f32_e32 v160, v117, v89
	v_fma_f32 v26, v26, v10, -v128
	v_sub_f32_e32 v111, v20, v28
	s_delay_alu instid0(VALU_DEP_4)
	v_dual_sub_f32 v31, v30, v32 :: v_dual_sub_f32 v114, v157, v161
	v_fmac_f32_e32 v127, v33, v8
	v_fma_f32 v33, v110, v4, -v139
	v_fma_f32 v29, v116, v88, -v160
	v_sub_f32_e32 v110, v105, v142
	v_fmac_f32_e32 v137, v39, v94
	s_delay_alu instid0(VALU_DEP_4) | instskip(SKIP_4) | instid1(VALU_DEP_4)
	v_dual_sub_f32 v39, v100, v26 :: v_dual_sub_f32 v34, v33, v35
	v_dual_sub_f32 v35, v140, v144 :: v_dual_sub_f32 v26, v25, v27
	v_sub_f32_e32 v113, v36, v29
	v_fma_f32 v116, v99, 2.0, -v38
	v_fma_f32 v125, v20, 2.0, -v111
	v_sub_f32_e32 v28, v109, v35
	v_fma_f32 v99, v121, 2.0, -v24
	v_fma_f32 v121, v102, 2.0, -v107
	;; [unrolled: 1-line block ×3, first 2 shown]
	v_sub_f32_e32 v20, v111, v114
	v_sub_f32_e32 v30, v115, v98
	v_sub_f32_e32 v27, v127, v131
	v_fma_f32 v117, v100, 2.0, -v39
	v_fma_f32 v120, v101, 2.0, -v106
	;; [unrolled: 1-line block ×6, first 2 shown]
	s_delay_alu instid0(VALU_DEP_4) | instskip(NEXT) | instid1(VALU_DEP_4)
	v_dual_add_f32 v29, v110, v34 :: v_dual_sub_f32 v34, v117, v100
	v_dual_sub_f32 v100, v123, v104 :: v_dual_add_f32 v23, v38, v23
	s_delay_alu instid0(VALU_DEP_3)
	v_sub_f32_e32 v104, v125, v127
	v_sub_f32_e32 v32, v133, v137
	;; [unrolled: 1-line block ×3, first 2 shown]
	v_fma_f32 v122, v103, 2.0, -v108
	v_fma_f32 v124, v105, 2.0, -v110
	v_fma_f32 v105, v140, 2.0, -v35
	v_fma_f32 v103, v133, 2.0, -v32
	v_fma_f32 v126, v21, 2.0, -v112
	v_fma_f32 v128, v157, 2.0, -v114
	v_add_f32_e32 v27, v108, v31
	v_sub_f32_e32 v31, v116, v99
	v_add_f32_e32 v25, v106, v26
	v_dual_sub_f32 v35, v120, v101 :: v_dual_sub_f32 v26, v107, v32
	v_add_f32_e32 v21, v112, v113
	v_fma_f32 v33, v38, 2.0, -v23
	v_fma_f32 v36, v39, 2.0, -v24
	v_dual_sub_f32 v38, v121, v102 :: v_dual_sub_f32 v39, v122, v103
	v_sub_f32_e32 v101, v124, v105
	v_sub_f32_e32 v105, v126, v128
	v_fma_f32 v32, v37, 2.0, -v22
	v_fma_f32 v99, v108, 2.0, -v27
	;; [unrolled: 1-line block ×18, first 2 shown]
	ds_store_2addr_b64 v151, v[30:31], v[22:23] offset0:20 offset1:30
	ds_store_2addr_b64 v151, v[108:109], v[32:33] offset1:10
	ds_store_2addr_b64 v154, v[110:111], v[36:37] offset1:10
	ds_store_2addr_b64 v154, v[34:35], v[24:25] offset0:20 offset1:30
	ds_store_2addr_b64 v155, v[112:113], v[98:99] offset1:10
	ds_store_2addr_b64 v155, v[38:39], v[26:27] offset0:20 offset1:30
	;; [unrolled: 2-line block ×4, first 2 shown]
	v_mul_hi_i32_i24_e32 v28, 24, v118
	v_add_co_u32 v32, vcc_lo, s10, v119
	global_wb scope:SCOPE_SE
	s_wait_dscnt 0x0
	s_barrier_signal -1
	s_wait_alu 0xfffd
	v_add_co_ci_u32_e32 v33, vcc_lo, s11, v28, vcc_lo
	s_barrier_wait -1
	global_inv scope:SCOPE_SE
	s_clause 0x9
	global_load_b128 v[20:23], v[44:45], off offset:240
	global_load_b64 v[102:103], v[44:45], off offset:256
	global_load_b128 v[24:27], v[44:45], off offset:624
	global_load_b64 v[100:101], v[44:45], off offset:640
	global_load_b128 v[28:31], v[32:33], off offset:240
	global_load_b64 v[98:99], v[32:33], off offset:256
	global_load_b128 v[32:35], v[44:45], off offset:432
	global_load_b64 v[104:105], v[44:45], off offset:448
	global_load_b128 v[36:39], v[44:45], off offset:816
	global_load_b64 v[106:107], v[44:45], off offset:832
	v_cmp_lt_u64_e32 vcc_lo, 39, v[42:43]
	ds_load_2addr_b64 v[42:45], v147 offset0:64 offset1:80
	ds_load_2addr_b64 v[108:111], v147 offset0:160 offset1:176
	s_wait_alu 0xfffd
	v_cndmask_b32_e64 v112, 0, 0xa0, vcc_lo
	s_delay_alu instid0(VALU_DEP_1)
	v_add_nc_u32_e32 v120, v112, v118
	ds_load_2addr_b64 v[112:115], v147 offset0:224 offset1:240
	ds_load_2addr_b64 v[116:119], v147 offset0:96 offset1:112
	v_add_lshl_u32 v157, v47, v120, 3
	ds_load_2addr_b64 v[120:123], v149 offset1:16
	ds_load_2addr_b64 v[124:127], v147 offset1:16
	ds_load_2addr_b64 v[128:131], v147 offset0:32 offset1:48
	ds_load_2addr_b64 v[132:135], v147 offset0:192 offset1:208
	ds_load_2addr_b64 v[139:142], v147 offset0:128 offset1:144
	ds_load_2addr_b64 v[158:161], v149 offset0:32 offset1:48
	global_wb scope:SCOPE_SE
	s_wait_loadcnt_dscnt 0x0
	s_barrier_signal -1
	s_barrier_wait -1
	global_inv scope:SCOPE_SE
	v_mul_f32_e32 v168, v120, v101
	v_mul_f32_e32 v170, v118, v29
	;; [unrolled: 1-line block ×4, first 2 shown]
	v_dual_mul_f32 v136, v44, v21 :: v_dual_mul_f32 v137, v109, v23
	v_mul_f32_e32 v164, v116, v25
	s_delay_alu instid0(VALU_DEP_4)
	v_dual_mul_f32 v47, v45, v21 :: v_dual_fmac_f32 v174, v123, v98
	v_mul_f32_e32 v144, v115, v103
	v_mul_f32_e32 v162, v114, v103
	;; [unrolled: 1-line block ×4, first 2 shown]
	v_dual_mul_f32 v143, v108, v23 :: v_dual_mul_f32 v182, v141, v37
	v_mul_f32_e32 v165, v111, v27
	v_dual_mul_f32 v184, v112, v39 :: v_dual_mul_f32 v169, v119, v29
	v_mul_f32_e32 v186, v160, v107
	v_dual_mul_f32 v173, v123, v99 :: v_dual_fmac_f32 v136, v45, v20
	v_fmac_f32_e32 v164, v117, v24
	v_fmac_f32_e32 v168, v121, v100
	s_delay_alu instid0(VALU_DEP_4)
	v_fmac_f32_e32 v186, v161, v106
	v_dual_mul_f32 v167, v121, v101 :: v_dual_fmac_f32 v176, v140, v32
	v_fma_f32 v45, v108, v22, -v137
	v_dual_mul_f32 v171, v133, v31 :: v_dual_mul_f32 v180, v158, v105
	v_mul_f32_e32 v163, v117, v25
	v_fma_f32 v44, v44, v20, -v47
	v_fma_f32 v47, v114, v102, -v144
	v_fmac_f32_e32 v162, v115, v102
	v_fmac_f32_e32 v180, v159, v104
	;; [unrolled: 1-line block ×3, first 2 shown]
	v_fma_f32 v115, v122, v98, -v173
	v_fmac_f32_e32 v178, v135, v34
	v_dual_fmac_f32 v143, v109, v22 :: v_dual_fmac_f32 v182, v142, v36
	v_fma_f32 v109, v110, v26, -v165
	v_mul_f32_e32 v177, v135, v35
	v_fma_f32 v110, v120, v100, -v167
	v_fmac_f32_e32 v184, v113, v38
	v_fma_f32 v111, v118, v28, -v169
	v_sub_f32_e32 v122, v126, v109
	v_mul_f32_e32 v175, v140, v33
	v_sub_f32_e32 v120, v124, v45
	v_fma_f32 v114, v132, v30, -v171
	v_dual_mul_f32 v179, v159, v105 :: v_dual_mul_f32 v172, v132, v31
	v_fma_f32 v108, v116, v24, -v163
	v_fma_f32 v117, v134, v34, -v177
	s_delay_alu instid0(VALU_DEP_4) | instskip(NEXT) | instid1(VALU_DEP_4)
	v_dual_sub_f32 v132, v128, v114 :: v_dual_mul_f32 v183, v113, v39
	v_fma_f32 v118, v158, v104, -v179
	v_sub_f32_e32 v114, v111, v115
	s_delay_alu instid0(VALU_DEP_4)
	v_sub_f32_e32 v134, v130, v117
	v_fma_f32 v116, v139, v32, -v175
	v_mul_f32_e32 v181, v142, v37
	v_fma_f32 v112, v112, v38, -v183
	v_fmac_f32_e32 v170, v119, v28
	v_fma_f32 v159, v130, 2.0, -v134
	v_sub_f32_e32 v117, v116, v118
	v_sub_f32_e32 v118, v176, v180
	v_fma_f32 v119, v141, v36, -v181
	v_sub_f32_e32 v45, v44, v47
	v_sub_f32_e32 v141, v182, v186
	v_fma_f32 v130, v116, 2.0, -v117
	v_sub_f32_e32 v137, v42, v112
	v_sub_f32_e32 v47, v136, v162
	v_mul_f32_e32 v185, v161, v107
	v_fmac_f32_e32 v172, v133, v30
	v_fma_f32 v142, v124, 2.0, -v120
	v_sub_f32_e32 v112, v134, v118
	v_fma_f32 v124, v44, 2.0, -v45
	v_sub_f32_e32 v109, v108, v110
	v_sub_f32_e32 v110, v164, v168
	v_fma_f32 v161, v42, 2.0, -v137
	v_sub_f32_e32 v42, v137, v141
	v_sub_f32_e32 v44, v120, v47
	;; [unrolled: 1-line block ×3, first 2 shown]
	v_fma_f32 v113, v160, v106, -v185
	v_fma_f32 v144, v128, 2.0, -v132
	v_fma_f32 v128, v111, 2.0, -v114
	v_sub_f32_e32 v115, v170, v174
	v_fma_f32 v143, v125, 2.0, -v121
	v_fma_f32 v125, v136, 2.0, -v47
	;; [unrolled: 1-line block ×3, first 2 shown]
	v_dual_sub_f32 v133, v129, v172 :: v_dual_sub_f32 v140, v119, v113
	v_fma_f32 v116, v120, 2.0, -v44
	v_sub_f32_e32 v139, v43, v184
	s_delay_alu instid0(VALU_DEP_3)
	v_dual_add_f32 v111, v133, v114 :: v_dual_sub_f32 v114, v142, v124
	v_fma_f32 v126, v108, 2.0, -v109
	v_sub_f32_e32 v108, v122, v110
	v_fma_f32 v163, v119, 2.0, -v140
	v_sub_f32_e32 v135, v131, v178
	v_add_f32_e32 v45, v121, v45
	s_delay_alu instid0(VALU_DEP_4) | instskip(SKIP_1) | instid1(VALU_DEP_4)
	v_fma_f32 v120, v122, 2.0, -v108
	v_dual_sub_f32 v122, v144, v128 :: v_dual_sub_f32 v123, v127, v166
	v_fma_f32 v160, v131, 2.0, -v135
	v_fma_f32 v131, v176, 2.0, -v118
	v_sub_f32_e32 v118, v47, v126
	v_fma_f32 v158, v129, 2.0, -v133
	v_fma_f32 v136, v127, 2.0, -v123
	;; [unrolled: 1-line block ×3, first 2 shown]
	v_dual_sub_f32 v110, v132, v115 :: v_dual_add_f32 v109, v123, v109
	v_fma_f32 v129, v170, 2.0, -v115
	v_sub_f32_e32 v126, v159, v130
	v_dual_sub_f32 v130, v161, v163 :: v_dual_add_f32 v113, v135, v117
	v_fma_f32 v117, v121, 2.0, -v45
	v_fma_f32 v121, v123, 2.0, -v109
	v_sub_f32_e32 v123, v158, v129
	v_fma_f32 v164, v182, 2.0, -v141
	v_fma_f32 v124, v132, 2.0, -v110
	;; [unrolled: 1-line block ×3, first 2 shown]
	v_sub_f32_e32 v115, v143, v125
	v_fma_f32 v137, v158, 2.0, -v123
	v_add_nc_u32_e32 v158, 0x400, v146
	v_fma_f32 v162, v43, 2.0, -v139
	v_sub_f32_e32 v119, v136, v127
	v_add_f32_e32 v43, v139, v140
	v_sub_f32_e32 v127, v160, v131
	v_fma_f32 v128, v134, 2.0, -v112
	v_sub_f32_e32 v131, v162, v164
	v_fma_f32 v129, v135, 2.0, -v113
	ds_store_b64 v147, v[44:45] offset:960
	v_fma_f32 v44, v142, 2.0, -v114
	v_fma_f32 v45, v143, 2.0, -v115
	;; [unrolled: 1-line block ×11, first 2 shown]
	ds_store_b64 v147, v[116:117] offset:320
	ds_store_b64 v147, v[114:115] offset:640
	ds_store_2addr_b64 v147, v[44:45], v[134:135] offset1:16
	ds_store_b64 v147, v[120:121] offset:448
	ds_store_b64 v147, v[118:119] offset:768
	;; [unrolled: 1-line block ×3, first 2 shown]
	ds_store_2addr_b64 v157, v[136:137], v[124:125] offset1:40
	ds_store_2addr_b64 v157, v[122:123], v[110:111] offset0:80 offset1:120
	ds_store_2addr_b64 v147, v[139:140], v[141:142] offset0:168 offset1:184
	;; [unrolled: 1-line block ×5, first 2 shown]
	global_wb scope:SCOPE_SE
	s_wait_dscnt 0x0
	s_barrier_signal -1
	s_barrier_wait -1
	global_inv scope:SCOPE_SE
	s_clause 0x9
	global_load_b64 v[108:109], v46, s[10:11] offset:1200
	global_load_b64 v[110:111], v46, s[10:11] offset:1328
	;; [unrolled: 1-line block ×10, first 2 shown]
	ds_load_2addr_b64 v[42:45], v147 offset0:160 offset1:176
	ds_load_2addr_b64 v[128:131], v147 offset0:192 offset1:208
	;; [unrolled: 1-line block ×3, first 2 shown]
	ds_load_2addr_b64 v[139:142], v149 offset1:16
	ds_load_2addr_b64 v[159:162], v147 offset1:16
	ds_load_2addr_b64 v[163:166], v147 offset0:32 offset1:48
	ds_load_2addr_b64 v[167:170], v149 offset0:32 offset1:48
	;; [unrolled: 1-line block ×5, first 2 shown]
	s_wait_loadcnt_dscnt 0x809
	v_dual_mul_f32 v136, v42, v109 :: v_dual_mul_f32 v137, v45, v111
	s_wait_loadcnt_dscnt 0x708
	v_mul_f32_e32 v144, v129, v113
	s_wait_loadcnt 0x6
	v_mul_f32_e32 v184, v131, v115
	s_wait_loadcnt_dscnt 0x507
	v_mul_f32_e32 v186, v133, v117
	s_wait_loadcnt 0x4
	v_mul_f32_e32 v188, v135, v119
	v_mul_f32_e32 v189, v134, v119
	;; [unrolled: 1-line block ×3, first 2 shown]
	s_wait_loadcnt_dscnt 0x306
	v_mul_f32_e32 v190, v140, v121
	s_wait_loadcnt_dscnt 0x103
	v_mul_f32_e32 v195, v167, v125
	v_fma_f32 v134, v134, v118, -v188
	s_wait_loadcnt 0x0
	v_dual_mul_f32 v47, v43, v109 :: v_dual_mul_f32 v196, v170, v127
	v_mul_f32_e32 v197, v169, v127
	v_fma_f32 v132, v132, v116, -v186
	s_wait_dscnt 0x2
	v_dual_mul_f32 v143, v44, v111 :: v_dual_sub_f32 v134, v173, v134
	v_fma_f32 v42, v42, v108, -v47
	v_fma_f32 v47, v128, v112, -v144
	v_dual_sub_f32 v132, v171, v132 :: v_dual_mul_f32 v183, v128, v113
	v_mul_f32_e32 v192, v142, v123
	v_mul_f32_e32 v194, v168, v125
	s_delay_alu instid0(VALU_DEP_4)
	v_sub_f32_e32 v128, v163, v47
	v_fmac_f32_e32 v136, v43, v108
	v_fma_f32 v44, v44, v110, -v137
	v_fmac_f32_e32 v143, v45, v110
	v_fma_f32 v137, v139, v120, -v190
	v_mul_f32_e32 v185, v130, v115
	v_fmac_f32_e32 v195, v168, v124
	v_mul_f32_e32 v191, v139, v121
	v_fma_f32 v144, v169, v126, -v196
	v_fmac_f32_e32 v197, v170, v126
	v_mul_f32_e32 v193, v141, v123
	v_fmac_f32_e32 v183, v129, v112
	v_fma_f32 v130, v130, v114, -v184
	v_fmac_f32_e32 v187, v133, v116
	v_fmac_f32_e32 v189, v135, v118
	v_fma_f32 v139, v141, v122, -v192
	v_fma_f32 v141, v167, v124, -v194
	v_dual_sub_f32 v42, v159, v42 :: v_dual_sub_f32 v43, v160, v136
	s_wait_dscnt 0x1
	v_dual_sub_f32 v45, v162, v143 :: v_dual_sub_f32 v136, v175, v137
	v_fmac_f32_e32 v185, v131, v114
	s_wait_dscnt 0x0
	v_dual_sub_f32 v143, v181, v144 :: v_dual_sub_f32 v144, v182, v197
	v_dual_fmac_f32 v193, v142, v122 :: v_dual_sub_f32 v142, v180, v195
	v_fmac_f32_e32 v191, v140, v120
	v_dual_sub_f32 v44, v161, v44 :: v_dual_sub_f32 v129, v164, v183
	v_dual_sub_f32 v130, v165, v130 :: v_dual_sub_f32 v131, v166, v185
	v_sub_f32_e32 v133, v172, v187
	v_sub_f32_e32 v135, v174, v189
	;; [unrolled: 1-line block ×3, first 2 shown]
	v_dual_sub_f32 v139, v177, v139 :: v_dual_sub_f32 v140, v178, v193
	v_sub_f32_e32 v141, v179, v141
	v_fma_f32 v159, v159, 2.0, -v42
	v_fma_f32 v160, v160, 2.0, -v43
	;; [unrolled: 1-line block ×20, first 2 shown]
	ds_store_b64 v147, v[159:160]
	ds_store_b64 v146, v[42:43] offset:1280
	ds_store_b64 v147, v[161:162] offset:128
	;; [unrolled: 1-line block ×6, first 2 shown]
	ds_store_2addr_b64 v146, v[130:131], v[132:133] offset0:208 offset1:224
	ds_store_2addr_b64 v146, v[167:168], v[169:170] offset0:64 offset1:80
	;; [unrolled: 1-line block ×6, first 2 shown]
	ds_store_b64 v146, v[143:144] offset:2432
	global_wb scope:SCOPE_SE
	s_wait_dscnt 0x0
	s_barrier_signal -1
	s_barrier_wait -1
	global_inv scope:SCOPE_SE
	s_clause 0x13
	global_load_b64 v[130:131], v46, s[8:9] offset:2560
	global_load_b64 v[136:137], v46, s[2:3] offset:256
	;; [unrolled: 1-line block ×20, first 2 shown]
	ds_load_b64 v[132:133], v147
	ds_load_b64 v[183:184], v147 offset:256
	s_mul_i32 s2, s5, 0xfffff780
	s_wait_loadcnt_dscnt 0x1200
	v_mul_f32_e32 v185, v184, v137
	v_mul_f32_e32 v186, v183, v137
	s_delay_alu instid0(VALU_DEP_2) | instskip(NEXT) | instid1(VALU_DEP_2)
	v_fma_f32 v185, v183, v136, -v185
	v_dual_fmac_f32 v186, v184, v136 :: v_dual_mul_f32 v139, v133, v131
	v_mul_f32_e32 v140, v132, v131
	s_delay_alu instid0(VALU_DEP_2) | instskip(NEXT) | instid1(VALU_DEP_2)
	v_fma_f32 v139, v132, v130, -v139
	v_fmac_f32_e32 v140, v133, v130
	ds_store_b64 v147, v[139:140]
	ds_load_2addr_b64 v[130:133], v147 offset0:64 offset1:96
	ds_load_2addr_b64 v[139:142], v147 offset0:128 offset1:160
	s_wait_loadcnt_dscnt 0x1101
	v_mul_f32_e32 v136, v131, v144
	v_mul_f32_e32 v137, v130, v144
	s_wait_loadcnt 0x10
	v_mul_f32_e32 v183, v133, v160
	v_mul_f32_e32 v144, v132, v160
	s_wait_loadcnt_dscnt 0xf00
	v_mul_f32_e32 v184, v140, v162
	s_wait_loadcnt 0xe
	v_dual_mul_f32 v160, v139, v162 :: v_dual_mul_f32 v187, v142, v164
	v_mul_f32_e32 v162, v141, v164
	v_fma_f32 v136, v130, v143, -v136
	v_fmac_f32_e32 v137, v131, v143
	v_fma_f32 v143, v132, v159, -v183
	v_fmac_f32_e32 v144, v133, v159
	;; [unrolled: 2-line block ×4, first 2 shown]
	ds_store_b64 v147, v[185:186] offset:256
	ds_store_2addr_b64 v147, v[136:137], v[143:144] offset0:64 offset1:96
	ds_store_2addr_b64 v147, v[159:160], v[161:162] offset0:128 offset1:160
	ds_load_b64 v[130:131], v146 offset:1536
	ds_load_b64 v[132:133], v146 offset:1792
	;; [unrolled: 1-line block ×4, first 2 shown]
	s_wait_loadcnt_dscnt 0xd03
	v_mul_f32_e32 v141, v131, v166
	s_wait_loadcnt_dscnt 0xc02
	v_dual_mul_f32 v142, v130, v166 :: v_dual_mul_f32 v143, v133, v168
	s_wait_loadcnt_dscnt 0xb01
	v_dual_mul_f32 v144, v132, v168 :: v_dual_mul_f32 v159, v137, v170
	v_mul_f32_e32 v160, v136, v170
	s_wait_loadcnt_dscnt 0xa00
	v_mul_f32_e32 v161, v140, v172
	v_mul_f32_e32 v162, v139, v172
	v_fma_f32 v141, v130, v165, -v141
	v_fmac_f32_e32 v142, v131, v165
	v_fma_f32 v143, v132, v167, -v143
	v_fmac_f32_e32 v144, v133, v167
	;; [unrolled: 2-line block ×4, first 2 shown]
	ds_store_b64 v146, v[141:142] offset:1536
	ds_store_b64 v146, v[143:144] offset:1792
	;; [unrolled: 1-line block ×4, first 2 shown]
	ds_load_b64 v[130:131], v147 offset:128
	ds_load_b64 v[132:133], v147 offset:384
	s_wait_loadcnt_dscnt 0x901
	v_mul_f32_e32 v136, v131, v174
	v_mul_f32_e32 v137, v130, v174
	s_wait_loadcnt_dscnt 0x800
	v_mul_f32_e32 v139, v133, v176
	v_mul_f32_e32 v140, v132, v176
	v_fma_f32 v136, v130, v173, -v136
	v_fmac_f32_e32 v137, v131, v173
	s_delay_alu instid0(VALU_DEP_4) | instskip(NEXT) | instid1(VALU_DEP_4)
	v_fma_f32 v139, v132, v175, -v139
	v_fmac_f32_e32 v140, v133, v175
	ds_store_b64 v147, v[136:137] offset:128
	ds_store_b64 v147, v[139:140] offset:384
	ds_load_2addr_b64 v[139:142], v146 offset0:80 offset1:112
	ds_load_b64 v[143:144], v146 offset:1152
	s_wait_loadcnt_dscnt 0x701
	v_mul_f32_e32 v130, v140, v178
	s_wait_loadcnt 0x6
	v_dual_mul_f32 v131, v139, v178 :: v_dual_mul_f32 v132, v142, v180
	s_wait_loadcnt_dscnt 0x500
	v_dual_mul_f32 v133, v141, v180 :: v_dual_mul_f32 v136, v144, v182
	v_mul_f32_e32 v137, v143, v182
	v_fma_f32 v130, v139, v177, -v130
	v_fmac_f32_e32 v131, v140, v177
	v_fma_f32 v132, v141, v179, -v132
	v_fmac_f32_e32 v133, v142, v179
	;; [unrolled: 2-line block ×3, first 2 shown]
	ds_store_2addr_b64 v146, v[130:131], v[132:133] offset0:80 offset1:112
	ds_store_b64 v146, v[136:137] offset:1152
	ds_load_b64 v[130:131], v147 offset:1408
	v_mad_co_u64_u32 v[132:133], null, s4, v138, 0
	s_wait_loadcnt 0x1
	s_delay_alu instid0(VALU_DEP_1) | instskip(SKIP_1) | instid1(VALU_DEP_1)
	v_mad_co_u64_u32 v[136:137], null, s5, v138, v[133:134]
	s_wait_dscnt 0x0
	v_dual_mov_b32 v133, v136 :: v_dual_mul_f32 v138, v131, v129
	v_mul_f32_e32 v137, v130, v129
	s_delay_alu instid0(VALU_DEP_2) | instskip(NEXT) | instid1(VALU_DEP_2)
	v_fma_f32 v136, v130, v128, -v138
	v_fmac_f32_e32 v137, v131, v128
	v_add_co_u32 v130, vcc_lo, s0, v40
	s_wait_alu 0xfffd
	v_add_co_ci_u32_e32 v131, vcc_lo, s1, v41, vcc_lo
	ds_store_b64 v147, v[136:137] offset:1408
	ds_load_b64 v[136:137], v146 offset:1664
	ds_load_b64 v[138:139], v146 offset:1920
	;; [unrolled: 1-line block ×4, first 2 shown]
	s_lshl_b64 s[0:1], s[4:5], 8
	s_wait_dscnt 0x3
	v_mul_f32_e32 v142, v137, v45
	s_wait_dscnt 0x2
	v_dual_mul_f32 v143, v136, v45 :: v_dual_mul_f32 v144, v139, v43
	v_mul_f32_e32 v45, v138, v43
	s_wait_dscnt 0x1
	v_mul_f32_e32 v159, v41, v135
	v_mul_f32_e32 v43, v40, v135
	s_wait_loadcnt_dscnt 0x0
	v_mul_f32_e32 v135, v141, v47
	v_mul_f32_e32 v160, v140, v47
	v_fma_f32 v142, v136, v44, -v142
	v_fmac_f32_e32 v143, v137, v44
	v_fma_f32 v44, v138, v42, -v144
	v_fmac_f32_e32 v45, v139, v42
	;; [unrolled: 2-line block ×4, first 2 shown]
	ds_store_b64 v146, v[142:143] offset:1664
	ds_store_b64 v146, v[44:45] offset:1920
	;; [unrolled: 1-line block ×4, first 2 shown]
	global_wb scope:SCOPE_SE
	s_wait_dscnt 0x0
	s_barrier_signal -1
	s_barrier_wait -1
	global_inv scope:SCOPE_SE
	ds_load_2addr_b64 v[40:43], v147 offset1:16
	ds_load_2addr_b64 v[140:143], v147 offset0:64 offset1:96
	ds_load_2addr_b64 v[159:162], v147 offset0:128 offset1:160
	;; [unrolled: 1-line block ×8, first 2 shown]
	ds_load_b64 v[183:184], v147 offset:1408
	ds_load_b64 v[185:186], v146 offset:2432
	global_wb scope:SCOPE_SE
	s_wait_dscnt 0x0
	s_barrier_signal -1
	s_barrier_wait -1
	global_inv scope:SCOPE_SE
	v_dual_add_f32 v144, v40, v140 :: v_dual_add_f32 v195, v41, v141
	v_dual_add_f32 v187, v159, v165 :: v_dual_sub_f32 v224, v181, v183
	v_sub_f32_e32 v188, v141, v170
	v_dual_sub_f32 v190, v140, v159 :: v_dual_sub_f32 v191, v169, v165
	s_delay_alu instid0(VALU_DEP_4)
	v_add_f32_e32 v144, v144, v159
	v_dual_add_f32 v192, v140, v169 :: v_dual_sub_f32 v193, v159, v140
	v_sub_f32_e32 v194, v165, v169
	v_dual_sub_f32 v197, v140, v169 :: v_dual_add_f32 v228, v163, v171
	v_dual_sub_f32 v198, v159, v165 :: v_dual_sub_f32 v199, v141, v160
	v_sub_f32_e32 v226, v183, v181
	v_sub_f32_e32 v200, v170, v166
	v_dual_add_f32 v201, v141, v170 :: v_dual_add_f32 v230, v164, v172
	v_sub_f32_e32 v202, v160, v141
	v_dual_add_f32 v140, v44, v142 :: v_dual_add_f32 v141, v45, v143
	v_add_f32_e32 v214, v42, v179
	v_sub_f32_e32 v216, v179, v163
	v_add_f32_e32 v219, v43, v180
	v_sub_f32_e32 v203, v166, v170
	v_sub_f32_e32 v215, v180, v176
	;; [unrolled: 1-line block ×3, first 2 shown]
	v_add_f32_e32 v221, v180, v176
	v_sub_f32_e32 v180, v164, v180
	v_add_f32_e32 v159, v195, v160
	v_dual_sub_f32 v189, v160, v166 :: v_dual_sub_f32 v218, v163, v179
	v_add_f32_e32 v196, v160, v166
	v_dual_add_f32 v204, v161, v173 :: v_dual_sub_f32 v205, v143, v178
	v_add_f32_e32 v214, v214, v163
	v_sub_f32_e32 v206, v162, v174
	v_sub_f32_e32 v207, v142, v161
	v_dual_add_f32 v208, v142, v177 :: v_dual_sub_f32 v209, v161, v142
	v_add_f32_e32 v210, v162, v174
	v_sub_f32_e32 v211, v142, v177
	v_sub_f32_e32 v212, v161, v173
	v_sub_f32_e32 v142, v143, v162
	v_add_f32_e32 v213, v143, v178
	v_dual_sub_f32 v143, v162, v143 :: v_dual_add_f32 v160, v140, v161
	v_dual_add_f32 v159, v159, v166 :: v_dual_add_f32 v166, v190, v191
	v_dual_add_f32 v191, v193, v194 :: v_dual_add_f32 v194, v199, v200
	v_add_f32_e32 v161, v141, v162
	v_dual_add_f32 v162, v47, v182 :: v_dual_add_f32 v165, v144, v165
	v_sub_f32_e32 v144, v177, v173
	v_fma_f32 v187, -0.5, v187, v40
	v_fma_f32 v40, -0.5, v192, v40
	v_sub_f32_e32 v199, v174, v178
	v_add_f32_e32 v162, v162, v184
	v_add_f32_e32 v222, v46, v181
	v_sub_f32_e32 v223, v182, v186
	v_dual_add_f32 v227, v182, v186 :: v_dual_sub_f32 v190, v173, v177
	v_sub_f32_e32 v193, v178, v174
	v_fma_f32 v192, -0.5, v196, v41
	v_fma_f32 v41, -0.5, v201, v41
	v_fma_f32 v196, -0.5, v204, v44
	v_fma_f32 v201, -0.5, v208, v44
	v_add_f32_e32 v44, v160, v173
	v_add_f32_e32 v160, v214, v171
	v_fmamk_f32 v214, v189, 0x3f737871, v40
	v_dual_fmac_f32 v40, 0xbf737871, v189 :: v_dual_add_f32 v199, v143, v199
	v_dual_sub_f32 v143, v185, v167 :: v_dual_add_f32 v162, v162, v168
	v_dual_sub_f32 v195, v182, v184 :: v_dual_sub_f32 v182, v184, v182
	v_sub_f32_e32 v229, v164, v172
	v_add_f32_e32 v164, v219, v164
	v_dual_add_f32 v200, v202, v203 :: v_dual_add_f32 v203, v207, v144
	v_sub_f32_e32 v144, v171, v175
	v_dual_add_f32 v217, v179, v175 :: v_dual_add_f32 v190, v209, v190
	v_dual_add_f32 v225, v181, v185 :: v_dual_sub_f32 v202, v175, v171
	s_delay_alu instid0(VALU_DEP_3)
	v_add_f32_e32 v218, v218, v144
	v_sub_f32_e32 v207, v176, v172
	v_add_f32_e32 v209, v183, v167
	v_sub_f32_e32 v144, v167, v185
	v_fma_f32 v219, -0.5, v230, v43
	v_fma_f32 v204, -0.5, v210, v45
	v_fmac_f32_e32 v43, -0.5, v221
	v_fma_f32 v208, -0.5, v213, v45
	v_sub_f32_e32 v221, v183, v167
	v_dual_add_f32 v183, v222, v183 :: v_dual_sub_f32 v222, v168, v186
	v_sub_f32_e32 v181, v181, v185
	v_dual_sub_f32 v163, v163, v171 :: v_dual_add_f32 v202, v216, v202
	v_sub_f32_e32 v216, v184, v168
	v_sub_f32_e32 v230, v186, v168
	v_fma_f32 v210, -0.5, v228, v42
	v_fma_f32 v42, -0.5, v217, v42
	v_add_f32_e32 v182, v182, v222
	v_dual_add_f32 v45, v161, v174 :: v_dual_fmac_f32 v214, 0xbf167918, v188
	v_dual_fmamk_f32 v217, v197, 0x3f737871, v192 :: v_dual_add_f32 v160, v160, v175
	v_dual_fmac_f32 v192, 0xbf737871, v197 :: v_dual_add_f32 v207, v220, v207
	v_add_f32_e32 v220, v184, v168
	v_fmamk_f32 v168, v211, 0x3f737871, v204
	v_add_f32_e32 v184, v226, v144
	v_fmamk_f32 v222, v198, 0xbf737871, v41
	v_fmac_f32_e32 v204, 0xbf737871, v211
	v_fmamk_f32 v171, v205, 0xbf737871, v196
	v_fmac_f32_e32 v196, 0x3f737871, v205
	v_fma_f32 v209, -0.5, v209, v46
	v_fma_f32 v46, -0.5, v225, v46
	v_fmamk_f32 v213, v188, 0xbf737871, v187
	v_fmac_f32_e32 v187, 0x3f737871, v188
	v_sub_f32_e32 v179, v179, v175
	v_dual_add_f32 v193, v142, v193 :: v_dual_sub_f32 v142, v172, v176
	v_fma_f32 v220, -0.5, v220, v47
	v_fmac_f32_e32 v47, -0.5, v227
	v_add_f32_e32 v161, v164, v172
	v_dual_add_f32 v159, v159, v170 :: v_dual_fmac_f32 v222, 0x3f167918, v197
	v_fmamk_f32 v172, v212, 0xbf737871, v208
	v_fmac_f32_e32 v208, 0x3f737871, v212
	v_dual_add_f32 v164, v183, v167 :: v_dual_fmamk_f32 v167, v206, 0x3f737871, v201
	v_add_f32_e32 v170, v45, v178
	v_fmamk_f32 v174, v216, 0x3f737871, v46
	v_dual_fmac_f32 v187, 0x3f167918, v189 :: v_dual_fmac_f32 v196, 0x3f167918, v206
	v_fmac_f32_e32 v46, 0xbf737871, v216
	v_dual_fmac_f32 v213, 0xbf167918, v189 :: v_dual_fmac_f32 v192, 0xbf167918, v198
	v_fmamk_f32 v189, v229, 0x3f737871, v42
	v_fmac_f32_e32 v42, 0xbf737871, v229
	v_dual_add_f32 v224, v224, v143 :: v_dual_add_f32 v195, v195, v230
	v_fmac_f32_e32 v41, 0x3f737871, v198
	v_dual_add_f32 v165, v165, v169 :: v_dual_fmac_f32 v40, 0x3f167918, v188
	v_fmac_f32_e32 v201, 0xbf737871, v206
	v_dual_fmac_f32 v217, 0x3f167918, v198 :: v_dual_fmac_f32 v168, 0x3f167918, v212
	v_fmamk_f32 v198, v163, 0xbf737871, v43
	v_dual_fmac_f32 v171, 0xbf167918, v206 :: v_dual_fmac_f32 v208, 0xbf167918, v211
	v_dual_add_f32 v169, v44, v177 :: v_dual_fmac_f32 v42, 0x3f167918, v215
	v_fmamk_f32 v225, v215, 0xbf737871, v210
	v_fmac_f32_e32 v210, 0x3f737871, v215
	v_fmamk_f32 v188, v179, 0x3f737871, v219
	s_delay_alu instid0(VALU_DEP_4)
	v_add_f32_e32 v44, v165, v169
	v_dual_fmac_f32 v167, 0xbf167918, v205 :: v_dual_fmac_f32 v174, 0xbf167918, v223
	v_fmac_f32_e32 v204, 0xbf167918, v212
	v_fmac_f32_e32 v172, 0x3f167918, v211
	v_dual_fmac_f32 v210, 0x3f167918, v229 :: v_dual_add_f32 v175, v161, v176
	v_add_f32_e32 v176, v164, v185
	v_fmac_f32_e32 v41, 0xbf167918, v197
	v_dual_fmac_f32 v217, 0x3e9e377a, v194 :: v_dual_fmac_f32 v222, 0x3e9e377a, v200
	v_fmamk_f32 v183, v181, 0x3f737871, v220
	v_fmac_f32_e32 v220, 0xbf737871, v181
	v_dual_fmac_f32 v201, 0x3f167918, v205 :: v_dual_fmac_f32 v46, 0x3f167918, v223
	v_dual_fmac_f32 v208, 0x3e9e377a, v199 :: v_dual_sub_f32 v161, v165, v169
	s_delay_alu instid0(VALU_DEP_2)
	v_dual_fmac_f32 v204, 0x3e9e377a, v193 :: v_dual_fmac_f32 v201, 0x3e9e377a, v190
	v_dual_fmac_f32 v172, 0x3e9e377a, v199 :: v_dual_add_f32 v45, v159, v170
	v_fmamk_f32 v173, v223, 0xbf737871, v209
	v_fmac_f32_e32 v174, 0x3e9e377a, v184
	v_fmac_f32_e32 v46, 0x3e9e377a, v184
	v_mul_f32_e32 v184, 0xbe9e377a, v208
	v_fmac_f32_e32 v209, 0x3f737871, v223
	v_dual_fmac_f32 v198, 0x3f167918, v179 :: v_dual_add_f32 v177, v162, v186
	v_fmac_f32_e32 v220, 0xbf167918, v221
	v_dual_sub_f32 v162, v159, v170 :: v_dual_fmac_f32 v189, 0xbf167918, v215
	v_fmac_f32_e32 v184, 0x3f737871, v201
	v_dual_fmac_f32 v188, 0x3f167918, v163 :: v_dual_fmac_f32 v209, 0x3f167918, v216
	v_dual_fmac_f32 v219, 0xbf737871, v179 :: v_dual_add_f32 v164, v175, v177
	v_fmamk_f32 v197, v221, 0xbf737871, v47
	v_dual_fmac_f32 v196, 0x3e9e377a, v203 :: v_dual_fmac_f32 v167, 0x3e9e377a, v190
	v_fmac_f32_e32 v47, 0x3f737871, v221
	v_dual_fmac_f32 v209, 0x3e9e377a, v224 :: v_dual_fmac_f32 v220, 0x3e9e377a, v195
	v_fmac_f32_e32 v219, 0xbf167918, v163
	v_dual_fmac_f32 v192, 0x3e9e377a, v194 :: v_dual_fmac_f32 v41, 0x3e9e377a, v200
	s_delay_alu instid0(VALU_DEP_4)
	v_fmac_f32_e32 v47, 0xbf167918, v181
	v_dual_fmac_f32 v171, 0x3e9e377a, v203 :: v_dual_fmac_f32 v168, 0x3e9e377a, v193
	v_mul_f32_e32 v194, 0xbf167918, v220
	v_mul_f32_e32 v185, 0xbf4f1bbd, v204
	v_dual_fmac_f32 v43, 0x3f737871, v163 :: v_dual_sub_f32 v170, v175, v177
	v_fmac_f32_e32 v47, 0x3e9e377a, v182
	s_delay_alu instid0(VALU_DEP_4) | instskip(NEXT) | instid1(VALU_DEP_4)
	v_fmac_f32_e32 v194, 0xbf4f1bbd, v209
	v_fmac_f32_e32 v185, 0x3f167918, v196
	v_dual_mul_f32 v165, 0xbf167918, v168 :: v_dual_add_f32 v180, v180, v142
	v_dual_fmac_f32 v213, 0x3e9e377a, v166 :: v_dual_fmac_f32 v214, 0x3e9e377a, v191
	v_add_f32_e32 v163, v160, v176
	v_sub_f32_e32 v169, v160, v176
	v_mul_f32_e32 v176, 0xbf737871, v208
	v_fmac_f32_e32 v197, 0x3f167918, v181
	v_mul_f32_e32 v193, 0xbf737871, v47
	v_dual_mul_f32 v199, 0xbe9e377a, v47 :: v_dual_add_f32 v160, v192, v185
	v_fmac_f32_e32 v165, 0x3f4f1bbd, v171
	v_fmac_f32_e32 v43, 0xbf167918, v179
	v_dual_fmac_f32 v189, 0x3e9e377a, v218 :: v_dual_fmac_f32 v198, 0x3e9e377a, v180
	v_fmac_f32_e32 v193, 0xbe9e377a, v46
	s_delay_alu instid0(VALU_DEP_4) | instskip(NEXT) | instid1(VALU_DEP_4)
	v_dual_fmac_f32 v199, 0x3f737871, v46 :: v_dual_add_f32 v46, v213, v165
	v_dual_fmac_f32 v42, 0x3e9e377a, v218 :: v_dual_fmac_f32 v43, 0x3e9e377a, v180
	v_mul_f32_e32 v180, 0x3f167918, v171
	v_dual_fmac_f32 v197, 0x3e9e377a, v182 :: v_dual_mul_f32 v182, 0x3e9e377a, v172
	v_dual_fmac_f32 v187, 0x3e9e377a, v166 :: v_dual_fmac_f32 v40, 0x3e9e377a, v191
	v_mul_f32_e32 v166, 0xbf737871, v172
	v_dual_fmac_f32 v225, 0xbf167918, v229 :: v_dual_mul_f32 v178, 0xbf167918, v204
	s_delay_alu instid0(VALU_DEP_4) | instskip(SKIP_1) | instid1(VALU_DEP_4)
	v_fmac_f32_e32 v182, 0x3f737871, v167
	v_dual_fmac_f32 v210, 0x3e9e377a, v202 :: v_dual_fmac_f32 v219, 0x3e9e377a, v207
	v_fmac_f32_e32 v166, 0x3e9e377a, v167
	v_mul_f32_e32 v200, 0xbf4f1bbd, v220
	s_delay_alu instid0(VALU_DEP_4) | instskip(NEXT) | instid1(VALU_DEP_3)
	v_dual_add_f32 v172, v222, v182 :: v_dual_fmac_f32 v183, 0x3f167918, v221
	v_dual_fmac_f32 v176, 0xbe9e377a, v201 :: v_dual_add_f32 v171, v214, v166
	v_fmac_f32_e32 v180, 0x3f4f1bbd, v168
	s_delay_alu instid0(VALU_DEP_4) | instskip(NEXT) | instid1(VALU_DEP_4)
	v_fmac_f32_e32 v200, 0x3f167918, v209
	v_fmac_f32_e32 v183, 0x3e9e377a, v195
	;; [unrolled: 1-line block ×3, first 2 shown]
	v_dual_fmac_f32 v225, 0x3e9e377a, v202 :: v_dual_fmac_f32 v188, 0x3e9e377a, v207
	v_mul_f32_e32 v191, 0xbf737871, v197
	s_delay_alu instid0(VALU_DEP_4) | instskip(NEXT) | instid1(VALU_DEP_4)
	v_mul_f32_e32 v190, 0xbf167918, v183
	v_fmac_f32_e32 v173, 0x3e9e377a, v224
	v_add_f32_e32 v47, v217, v180
	v_sub_f32_e32 v179, v40, v176
	v_add_f32_e32 v168, v219, v200
	v_dual_fmac_f32 v178, 0xbf4f1bbd, v196 :: v_dual_sub_f32 v175, v213, v165
	v_mul_f32_e32 v195, 0x3f167918, v173
	v_dual_fmac_f32 v190, 0x3f4f1bbd, v173 :: v_dual_add_f32 v173, v40, v176
	v_sub_f32_e32 v176, v217, v180
	s_delay_alu instid0(VALU_DEP_3) | instskip(SKIP_3) | instid1(VALU_DEP_4)
	v_dual_sub_f32 v180, v41, v184 :: v_dual_fmac_f32 v195, 0x3f4f1bbd, v183
	v_mul_f32_e32 v197, 0x3e9e377a, v197
	v_sub_f32_e32 v177, v214, v166
	v_fmac_f32_e32 v191, 0x3e9e377a, v174
	v_dual_add_f32 v159, v187, v178 :: v_dual_add_f32 v166, v188, v195
	s_delay_alu instid0(VALU_DEP_4)
	v_dual_sub_f32 v188, v188, v195 :: v_dual_fmac_f32 v197, 0x3f737871, v174
	v_add_f32_e32 v186, v43, v199
	v_dual_add_f32 v174, v41, v184 :: v_dual_sub_f32 v181, v187, v178
	v_sub_f32_e32 v178, v222, v182
	v_sub_f32_e32 v182, v192, v185
	v_add_f32_e32 v184, v198, v197
	v_add_f32_e32 v185, v42, v193
	v_sub_f32_e32 v40, v42, v193
	v_dual_sub_f32 v42, v210, v194 :: v_dual_sub_f32 v41, v43, v199
	v_sub_f32_e32 v43, v219, v200
	v_add_f32_e32 v165, v225, v190
	v_add_f32_e32 v183, v189, v191
	;; [unrolled: 1-line block ×3, first 2 shown]
	v_sub_f32_e32 v187, v225, v190
	v_dual_sub_f32 v189, v189, v191 :: v_dual_sub_f32 v190, v198, v197
	ds_store_b128 v150, v[44:47]
	ds_store_b128 v150, v[171:174] offset:16
	ds_store_b128 v150, v[159:162] offset:32
	;; [unrolled: 1-line block ×4, first 2 shown]
	ds_store_b128 v145, v[163:166]
	ds_store_b128 v145, v[183:186] offset:16
	ds_store_b128 v145, v[167:170] offset:32
	;; [unrolled: 1-line block ×4, first 2 shown]
	global_wb scope:SCOPE_SE
	s_wait_dscnt 0x0
	s_barrier_signal -1
	s_barrier_wait -1
	global_inv scope:SCOPE_SE
	ds_load_2addr_b64 v[42:45], v147 offset0:64 offset1:80
	ds_load_2addr_b64 v[159:162], v147 offset0:160 offset1:176
	ds_load_2addr_b64 v[163:166], v147 offset0:224 offset1:240
	ds_load_2addr_b64 v[167:170], v147 offset0:96 offset1:112
	ds_load_2addr_b64 v[171:174], v149 offset1:16
	ds_load_2addr_b64 v[175:178], v147 offset1:16
	ds_load_2addr_b64 v[179:182], v147 offset0:32 offset1:48
	ds_load_2addr_b64 v[183:186], v147 offset0:192 offset1:208
	;; [unrolled: 1-line block ×4, first 2 shown]
	global_wb scope:SCOPE_SE
	s_wait_dscnt 0x0
	s_barrier_signal -1
	s_barrier_wait -1
	global_inv scope:SCOPE_SE
	v_lshlrev_b64_e32 v[128:129], 3, v[132:133]
	s_delay_alu instid0(VALU_DEP_1) | instskip(SKIP_1) | instid1(VALU_DEP_2)
	v_add_co_u32 v128, vcc_lo, v130, v128
	s_wait_alu 0xfffd
	v_add_co_ci_u32_e32 v129, vcc_lo, v131, v129, vcc_lo
	v_mul_f32_e32 v200, v95, v174
	s_wait_alu 0xfffe
	v_add_co_u32 v130, vcc_lo, v128, s0
	v_mul_f32_e32 v196, v11, v162
	s_delay_alu instid0(VALU_DEP_3)
	v_dual_mul_f32 v47, v19, v160 :: v_dual_fmac_f32 v200, v94, v173
	v_mul_f32_e32 v198, v13, v170
	v_mul_f32_e32 v204, v1, v190
	;; [unrolled: 1-line block ×4, first 2 shown]
	v_dual_mul_f32 v9, v9, v167 :: v_dual_fmac_f32 v196, v10, v161
	v_mul_f32_e32 v11, v11, v161
	v_mul_f32_e32 v46, v17, v45
	v_dual_mul_f32 v17, v17, v44 :: v_dual_mul_f32 v202, v7, v186
	v_dual_mul_f32 v19, v19, v159 :: v_dual_mul_f32 v150, v93, v166
	v_mul_f32_e32 v205, v3, v164
	v_dual_fmac_f32 v47, v18, v159 :: v_dual_fmac_f32 v198, v12, v169
	v_fmac_f32_e32 v204, v0, v189
	v_fmac_f32_e32 v195, v8, v167
	;; [unrolled: 1-line block ×3, first 2 shown]
	v_fma_f32 v8, v8, v168, -v9
	v_fma_f32 v9, v10, v162, -v11
	v_mul_f32_e32 v197, v97, v172
	v_mul_f32_e32 v13, v13, v169
	v_dual_mul_f32 v3, v3, v163 :: v_dual_fmac_f32 v46, v16, v44
	v_fma_f32 v16, v16, v45, -v17
	v_fmac_f32_e32 v150, v92, v165
	v_mul_f32_e32 v93, v93, v165
	v_dual_fmac_f32 v202, v6, v185 :: v_dual_mul_f32 v199, v15, v184
	v_fma_f32 v17, v18, v160, -v19
	v_fmac_f32_e32 v205, v2, v163
	v_mul_f32_e32 v15, v15, v183
	v_sub_f32_e32 v19, v175, v47
	v_mul_f32_e32 v1, v1, v189
	v_sub_f32_e32 v44, v178, v9
	v_sub_f32_e32 v9, v198, v200
	v_fma_f32 v11, v12, v170, -v13
	v_fma_f32 v12, v14, v184, -v15
	;; [unrolled: 1-line block ×4, first 2 shown]
	v_sub_f32_e32 v2, v46, v150
	v_fma_f32 v18, v92, v166, -v93
	v_sub_f32_e32 v92, v204, v206
	v_fma_f32 v162, v198, 2.0, -v9
	v_mul_f32_e32 v89, v89, v193
	v_mul_f32_e32 v201, v5, v188
	v_fmac_f32_e32 v197, v96, v171
	v_fma_f32 v170, v204, 2.0, -v92
	v_mul_f32_e32 v97, v97, v171
	v_fma_f32 v1, v88, v194, -v89
	v_dual_sub_f32 v88, v181, v202 :: v_dual_fmac_f32 v199, v14, v183
	v_mul_f32_e32 v5, v5, v187
	v_fmac_f32_e32 v201, v4, v187
	v_sub_f32_e32 v17, v176, v17
	v_sub_f32_e32 v3, v16, v18
	;; [unrolled: 1-line block ×3, first 2 shown]
	v_mul_f32_e32 v7, v7, v185
	v_fma_f32 v14, v4, v188, -v5
	v_dual_sub_f32 v18, v177, v196 :: v_dual_sub_f32 v93, v15, v1
	v_fma_f32 v46, v46, 2.0, -v2
	s_delay_alu instid0(VALU_DEP_4)
	v_fma_f32 v4, v6, v186, -v7
	v_sub_f32_e32 v6, v195, v197
	v_fma_f32 v10, v96, v172, -v97
	v_sub_f32_e32 v1, v17, v2
	v_sub_f32_e32 v47, v180, v12
	;; [unrolled: 1-line block ×3, first 2 shown]
	v_fma_f32 v16, v16, 2.0, -v3
	v_sub_f32_e32 v7, v8, v10
	v_mul_f32_e32 v203, v91, v192
	v_mul_f32_e32 v91, v91, v191
	v_fma_f32 v96, v177, 2.0, -v18
	v_fma_f32 v97, v178, 2.0, -v44
	v_add_f32_e32 v2, v18, v7
	v_fmac_f32_e32 v203, v90, v191
	v_mul_f32_e32 v95, v95, v173
	v_fma_f32 v5, v90, v192, -v91
	v_dual_sub_f32 v90, v42, v205 :: v_dual_sub_f32 v91, v43, v0
	s_delay_alu instid0(VALU_DEP_4) | instskip(NEXT) | instid1(VALU_DEP_4)
	v_sub_f32_e32 v12, v201, v203
	v_fma_f32 v13, v94, v174, -v95
	v_fma_f32 v94, v175, 2.0, -v19
	v_fma_f32 v95, v176, 2.0, -v17
	;; [unrolled: 1-line block ×4, first 2 shown]
	v_sub_f32_e32 v10, v11, v13
	v_dual_sub_f32 v13, v14, v5 :: v_dual_add_f32 v0, v19, v3
	v_sub_f32_e32 v3, v44, v6
	v_fma_f32 v160, v179, 2.0, -v45
	v_fma_f32 v161, v180, 2.0, -v47
	v_fma_f32 v163, v11, 2.0, -v10
	v_dual_add_f32 v4, v45, v10 :: v_dual_sub_f32 v5, v47, v9
	v_fma_f32 v164, v181, 2.0, -v88
	v_fma_f32 v165, v182, 2.0, -v89
	;; [unrolled: 1-line block ×4, first 2 shown]
	v_dual_add_f32 v6, v88, v13 :: v_dual_sub_f32 v7, v89, v12
	v_fma_f32 v168, v42, 2.0, -v90
	v_fma_f32 v169, v43, 2.0, -v91
	;; [unrolled: 1-line block ×3, first 2 shown]
	v_dual_sub_f32 v10, v94, v46 :: v_dual_sub_f32 v11, v95, v16
	v_dual_sub_f32 v14, v96, v150 :: v_dual_sub_f32 v15, v97, v159
	v_dual_add_f32 v8, v90, v93 :: v_dual_sub_f32 v9, v91, v92
	v_fma_f32 v12, v19, 2.0, -v0
	v_fma_f32 v13, v17, 2.0, -v1
	;; [unrolled: 1-line block ×4, first 2 shown]
	v_dual_sub_f32 v18, v160, v162 :: v_dual_sub_f32 v19, v161, v163
	v_fma_f32 v42, v45, 2.0, -v4
	v_fma_f32 v43, v47, 2.0, -v5
	v_dual_sub_f32 v44, v164, v166 :: v_dual_sub_f32 v45, v165, v167
	v_fma_f32 v46, v88, 2.0, -v6
	v_fma_f32 v47, v89, 2.0, -v7
	;; [unrolled: 3-line block ×3, first 2 shown]
	v_fma_f32 v94, v96, 2.0, -v14
	v_fma_f32 v95, v97, 2.0, -v15
	;; [unrolled: 1-line block ×10, first 2 shown]
	ds_store_2addr_b64 v151, v[10:11], v[0:1] offset0:20 offset1:30
	ds_store_2addr_b64 v151, v[92:93], v[12:13] offset1:10
	ds_store_2addr_b64 v154, v[94:95], v[16:17] offset1:10
	ds_store_2addr_b64 v154, v[14:15], v[2:3] offset0:20 offset1:30
	ds_store_2addr_b64 v155, v[96:97], v[42:43] offset1:10
	ds_store_2addr_b64 v155, v[18:19], v[4:5] offset0:20 offset1:30
	;; [unrolled: 2-line block ×4, first 2 shown]
	global_wb scope:SCOPE_SE
	s_wait_dscnt 0x0
	s_barrier_signal -1
	s_barrier_wait -1
	global_inv scope:SCOPE_SE
	ds_load_2addr_b64 v[2:5], v147 offset0:64 offset1:80
	ds_load_2addr_b64 v[6:9], v147 offset0:160 offset1:176
	;; [unrolled: 1-line block ×4, first 2 shown]
	ds_load_2addr_b64 v[42:45], v149 offset1:16
	ds_load_2addr_b64 v[88:91], v147 offset1:16
	ds_load_2addr_b64 v[92:95], v147 offset0:32 offset1:48
	ds_load_2addr_b64 v[150:153], v147 offset0:192 offset1:208
	;; [unrolled: 1-line block ×4, first 2 shown]
	s_wait_alu 0xfffd
	v_add_co_ci_u32_e32 v131, vcc_lo, s1, v129, vcc_lo
	v_add_co_u32 v132, vcc_lo, v130, s0
	global_wb scope:SCOPE_SE
	s_wait_dscnt 0x0
	s_wait_alu 0xfffd
	v_add_co_ci_u32_e32 v133, vcc_lo, s1, v131, vcc_lo
	v_add_co_u32 v134, vcc_lo, v132, s0
	s_barrier_signal -1
	s_wait_alu 0xfffd
	s_delay_alu instid0(VALU_DEP_2) | instskip(NEXT) | instid1(VALU_DEP_2)
	v_add_co_ci_u32_e32 v135, vcc_lo, s1, v133, vcc_lo
	v_add_co_u32 v136, vcc_lo, v134, s0
	v_mul_f32_e32 v167, v99, v45
	v_mul_f32_e32 v18, v21, v5
	;; [unrolled: 1-line block ×6, first 2 shown]
	v_dual_mul_f32 v37, v37, v161 :: v_dual_mul_f32 v172, v39, v11
	s_delay_alu instid0(VALU_DEP_4)
	v_fmac_f32_e32 v169, v34, v152
	v_mul_f32_e32 v39, v39, v10
	v_mul_f32_e32 v173, v107, v166
	;; [unrolled: 1-line block ×3, first 2 shown]
	v_fmac_f32_e32 v97, v26, v8
	v_fma_f32 v8, v26, v9, -v27
	v_dual_sub_f32 v26, v94, v169 :: v_dual_mul_f32 v19, v21, v4
	s_wait_alu 0xfffd
	v_add_co_ci_u32_e32 v137, vcc_lo, s1, v135, vcc_lo
	v_mul_f32_e32 v46, v103, v13
	v_mul_f32_e32 v96, v25, v15
	;; [unrolled: 1-line block ×5, first 2 shown]
	v_fmac_f32_e32 v18, v20, v4
	v_fma_f32 v4, v20, v5, -v19
	v_fma_f32 v19, v36, v162, -v37
	v_fmac_f32_e32 v172, v38, v10
	v_fma_f32 v10, v38, v11, -v39
	v_fma_f32 v11, v106, v166, -v107
	v_add_co_u32 v138, vcc_lo, v136, s0
	s_wait_alu 0xfffd
	v_add_co_ci_u32_e32 v139, vcc_lo, s1, v137, vcc_lo
	v_mul_f32_e32 v47, v103, v12
	v_mul_f32_e32 v25, v25, v14
	v_dual_mul_f32 v155, v31, v151 :: v_dual_fmac_f32 v46, v102, v12
	v_fmac_f32_e32 v96, v24, v14
	v_fma_f32 v12, v28, v17, -v29
	v_fma_f32 v14, v98, v45, -v99
	v_sub_f32_e32 v29, v19, v11
	v_mul_f32_e32 v21, v23, v7
	v_fma_f32 v45, v94, 2.0, -v26
	v_mul_f32_e32 v23, v23, v6
	v_add_co_u32 v140, vcc_lo, v138, s0
	s_wait_alu 0xfffd
	v_add_co_ci_u32_e32 v141, vcc_lo, s1, v139, vcc_lo
	v_fmac_f32_e32 v21, v22, v6
	v_fma_f32 v5, v22, v7, -v23
	v_fmac_f32_e32 v155, v30, v150
	v_add_co_u32 v142, vcc_lo, v140, s0
	s_wait_alu 0xfffd
	v_add_co_ci_u32_e32 v143, vcc_lo, s1, v141, vcc_lo
	v_mul_f32_e32 v168, v33, v160
	v_mul_f32_e32 v33, v33, v159
	v_fma_f32 v7, v24, v15, -v25
	v_sub_f32_e32 v20, v88, v21
	v_sub_f32_e32 v21, v89, v5
	v_dual_sub_f32 v5, v18, v46 :: v_dual_sub_f32 v24, v92, v155
	v_add_co_u32 v144, vcc_lo, v142, s0
	s_wait_alu 0xfffd
	v_add_co_ci_u32_e32 v145, vcc_lo, s1, v143, vcc_lo
	v_mul_f32_e32 v103, v101, v43
	v_fmac_f32_e32 v168, v32, v159
	v_fma_f32 v15, v32, v160, -v33
	v_sub_f32_e32 v14, v12, v14
	v_fma_f32 v32, v88, 2.0, -v20
	v_fma_f32 v18, v18, 2.0, -v5
	v_fma_f32 v39, v92, 2.0, -v24
	v_mul_f32_e32 v101, v101, v42
	v_add_co_u32 v40, vcc_lo, v144, s0
	v_mul_f32_e32 v31, v31, v150
	v_mul_f32_e32 v35, v35, v152
	;; [unrolled: 1-line block ×4, first 2 shown]
	s_wait_alu 0xfffd
	v_add_co_ci_u32_e32 v41, vcc_lo, s1, v145, vcc_lo
	v_fmac_f32_e32 v103, v100, v42
	v_fma_f32 v9, v100, v43, -v101
	v_fmac_f32_e32 v167, v98, v44
	v_fma_f32 v44, v12, 2.0, -v14
	v_sub_f32_e32 v12, v32, v18
	v_fma_f32 v6, v102, v13, -v47
	v_fmac_f32_e32 v154, v28, v16
	v_fma_f32 v13, v30, v151, -v31
	v_fma_f32 v16, v34, v153, -v35
	v_fmac_f32_e32 v170, v104, v163
	v_fma_f32 v17, v104, v164, -v105
	v_fmac_f32_e32 v171, v36, v161
	v_fmac_f32_e32 v173, v106, v165
	v_mad_co_u64_u32 v[0:1], null, 0xfffff780, s4, v[40:41]
	v_sub_f32_e32 v6, v4, v6
	v_dual_sub_f32 v22, v90, v97 :: v_dual_sub_f32 v23, v91, v8
	v_dual_sub_f32 v8, v96, v103 :: v_dual_sub_f32 v9, v7, v9
	v_sub_f32_e32 v25, v93, v13
	v_sub_f32_e32 v13, v154, v167
	v_dual_sub_f32 v27, v95, v16 :: v_dual_sub_f32 v16, v168, v170
	v_dual_sub_f32 v17, v15, v17 :: v_dual_sub_f32 v30, v2, v172
	v_sub_f32_e32 v31, v3, v10
	v_sub_f32_e32 v28, v171, v173
	v_fma_f32 v33, v89, 2.0, -v21
	v_fma_f32 v34, v4, 2.0, -v6
	;; [unrolled: 1-line block ×6, first 2 shown]
	s_sub_co_i32 s4, s2, s4
	s_wait_alu 0xfffe
	v_dual_add_f32 v4, v20, v6 :: v_dual_add_nc_u32 v1, s4, v1
	v_sub_f32_e32 v5, v21, v5
	v_dual_add_f32 v6, v22, v9 :: v_dual_sub_f32 v7, v23, v8
	v_fma_f32 v42, v93, 2.0, -v25
	v_fma_f32 v43, v154, 2.0, -v13
	v_dual_add_f32 v8, v24, v14 :: v_dual_sub_f32 v9, v25, v13
	v_fma_f32 v46, v95, 2.0, -v27
	v_fma_f32 v47, v168, 2.0, -v16
	;; [unrolled: 1-line block ×7, first 2 shown]
	v_dual_add_f32 v10, v26, v17 :: v_dual_sub_f32 v11, v27, v16
	v_dual_sub_f32 v13, v33, v34 :: v_dual_sub_f32 v16, v35, v37
	v_dual_sub_f32 v17, v36, v38 :: v_dual_add_f32 v2, v30, v29
	v_sub_f32_e32 v3, v31, v28
	v_fma_f32 v14, v20, 2.0, -v4
	v_fma_f32 v15, v21, 2.0, -v5
	;; [unrolled: 1-line block ×4, first 2 shown]
	v_dual_sub_f32 v20, v39, v43 :: v_dual_sub_f32 v21, v42, v44
	v_fma_f32 v22, v24, 2.0, -v8
	v_fma_f32 v23, v25, 2.0, -v9
	v_dual_sub_f32 v24, v45, v47 :: v_dual_sub_f32 v25, v46, v88
	v_dual_sub_f32 v28, v89, v91 :: v_dual_sub_f32 v29, v90, v92
	s_barrier_wait -1
	global_inv scope:SCOPE_SE
	ds_store_b64 v147, v[4:5] offset:960
	v_fma_f32 v4, v32, 2.0, -v12
	v_fma_f32 v5, v33, 2.0, -v13
	;; [unrolled: 1-line block ×14, first 2 shown]
	ds_store_b64 v147, v[14:15] offset:320
	ds_store_b64 v147, v[12:13] offset:640
	ds_store_2addr_b64 v147, v[4:5], v[32:33] offset1:16
	ds_store_b64 v147, v[18:19] offset:448
	ds_store_b64 v147, v[16:17] offset:768
	;; [unrolled: 1-line block ×3, first 2 shown]
	ds_store_2addr_b64 v157, v[34:35], v[22:23] offset1:40
	ds_store_2addr_b64 v157, v[20:21], v[8:9] offset0:80 offset1:120
	ds_store_2addr_b64 v147, v[36:37], v[38:39] offset0:168 offset1:184
	ds_store_2addr_b64 v147, v[26:27], v[30:31] offset0:208 offset1:224
	ds_store_2addr_b64 v156, v[24:25], v[28:29] offset0:120 offset1:136
	ds_store_2addr_b64 v149, v[10:11], v[2:3] offset0:32 offset1:48
	global_wb scope:SCOPE_SE
	s_wait_dscnt 0x0
	s_barrier_signal -1
	s_barrier_wait -1
	global_inv scope:SCOPE_SE
	ds_load_2addr_b64 v[6:9], v147 offset0:160 offset1:176
	ds_load_2addr_b64 v[10:13], v147 offset0:192 offset1:208
	;; [unrolled: 1-line block ×3, first 2 shown]
	ds_load_2addr_b64 v[18:21], v149 offset1:16
	ds_load_2addr_b64 v[22:25], v147 offset1:16
	ds_load_2addr_b64 v[26:29], v147 offset0:32 offset1:48
	ds_load_2addr_b64 v[30:33], v149 offset0:32 offset1:48
	;; [unrolled: 1-line block ×5, first 2 shown]
	s_mov_b32 s2, 0x9999999a
	s_mov_b32 s3, 0x3f699999
	v_add_co_u32 v2, vcc_lo, v0, s0
	s_wait_alu 0xfffd
	v_add_co_ci_u32_e32 v3, vcc_lo, s1, v1, vcc_lo
	s_delay_alu instid0(VALU_DEP_2) | instskip(SKIP_1) | instid1(VALU_DEP_2)
	v_add_co_u32 v4, vcc_lo, v2, s0
	s_wait_alu 0xfffd
	v_add_co_ci_u32_e32 v5, vcc_lo, s1, v3, vcc_lo
	s_delay_alu instid0(VALU_DEP_2)
	v_add_co_u32 v38, vcc_lo, v4, s0
	s_wait_dscnt 0x9
	v_mul_f32_e32 v39, v109, v7
	v_dual_mul_f32 v46, v109, v6 :: v_dual_mul_f32 v47, v111, v9
	s_wait_dscnt 0x8
	v_dual_mul_f32 v92, v111, v8 :: v_dual_mul_f32 v93, v113, v11
	v_dual_mul_f32 v94, v113, v10 :: v_dual_mul_f32 v95, v115, v13
	s_wait_dscnt 0x7
	v_dual_mul_f32 v96, v115, v12 :: v_dual_mul_f32 v97, v117, v15
	;; [unrolled: 3-line block ×4, first 2 shown]
	v_dual_mul_f32 v106, v125, v30 :: v_dual_mul_f32 v107, v127, v33
	v_mul_f32_e32 v109, v127, v32
	v_fmac_f32_e32 v39, v108, v6
	v_fma_f32 v7, v108, v7, -v46
	v_fmac_f32_e32 v47, v110, v8
	v_fma_f32 v9, v110, v9, -v92
	;; [unrolled: 2-line block ×10, first 2 shown]
	v_sub_f32_e32 v6, v22, v39
	v_sub_f32_e32 v7, v23, v7
	v_dual_sub_f32 v8, v24, v47 :: v_dual_sub_f32 v9, v25, v9
	v_dual_sub_f32 v10, v26, v93 :: v_dual_sub_f32 v11, v27, v11
	;; [unrolled: 1-line block ×3, first 2 shown]
	s_wait_dscnt 0x2
	v_dual_sub_f32 v14, v34, v97 :: v_dual_sub_f32 v15, v35, v15
	v_dual_sub_f32 v16, v36, v99 :: v_dual_sub_f32 v17, v37, v17
	s_wait_dscnt 0x1
	v_dual_sub_f32 v18, v42, v101 :: v_dual_sub_f32 v19, v43, v19
	v_dual_sub_f32 v20, v44, v103 :: v_dual_sub_f32 v21, v45, v21
	;; [unrolled: 3-line block ×3, first 2 shown]
	v_fma_f32 v22, v22, 2.0, -v6
	v_fma_f32 v23, v23, 2.0, -v7
	;; [unrolled: 1-line block ×20, first 2 shown]
	ds_store_b64 v147, v[6:7] offset:1280
	ds_store_2addr_b64 v147, v[22:23], v[24:25] offset1:16
	ds_store_b64 v147, v[8:9] offset:1408
	ds_store_b64 v147, v[26:27] offset:256
	;; [unrolled: 1-line block ×7, first 2 shown]
	ds_store_2addr_b64 v146, v[14:15], v[16:17] offset0:224 offset1:240
	ds_store_b64 v147, v[42:43] offset:768
	ds_store_b64 v146, v[44:45] offset:896
	ds_store_2addr_b64 v148, v[18:19], v[20:21] offset1:16
	ds_store_b64 v147, v[46:47] offset:1024
	ds_store_b64 v146, v[88:89] offset:1152
	ds_store_2addr_b64 v148, v[30:31], v[32:33] offset0:32 offset1:48
	global_wb scope:SCOPE_SE
	s_wait_dscnt 0x0
	s_barrier_signal -1
	s_barrier_wait -1
	global_inv scope:SCOPE_SE
	ds_load_2addr_b64 v[6:9], v147 offset1:16
	ds_load_2addr_b64 v[10:13], v147 offset0:32 offset1:48
	ds_load_2addr_b64 v[14:17], v147 offset0:64 offset1:96
	;; [unrolled: 1-line block ×8, first 2 shown]
	ds_load_b64 v[90:91], v147 offset:1408
	ds_load_b64 v[92:93], v146 offset:2432
	s_wait_alu 0xfffd
	v_add_co_ci_u32_e32 v39, vcc_lo, s1, v5, vcc_lo
	v_add_co_u32 v46, vcc_lo, v38, s0
	s_wait_alu 0xfffd
	s_delay_alu instid0(VALU_DEP_2) | instskip(NEXT) | instid1(VALU_DEP_2)
	v_add_co_ci_u32_e32 v47, vcc_lo, s1, v39, vcc_lo
	v_add_co_u32 v88, vcc_lo, v46, s0
	s_wait_alu 0xfffd
	s_delay_alu instid0(VALU_DEP_2)
	v_add_co_ci_u32_e32 v89, vcc_lo, s1, v47, vcc_lo
	s_wait_dscnt 0x5
	v_dual_mul_f32 v101, v83, v29 :: v_dual_mul_f32 v94, v49, v7
	v_mul_f32_e32 v49, v49, v6
	v_mul_f32_e32 v95, v67, v11
	v_mul_f32_e32 v67, v67, v10
	v_mul_f32_e32 v96, v51, v15
	v_mul_f32_e32 v51, v51, v14
	v_mul_f32_e32 v97, v71, v17
	v_dual_mul_f32 v71, v71, v16 :: v_dual_mul_f32 v98, v53, v19
	v_mul_f32_e32 v53, v53, v18
	v_mul_f32_e32 v99, v55, v21
	v_dual_mul_f32 v55, v55, v20 :: v_dual_mul_f32 v100, v57, v25
	s_wait_dscnt 0x4
	v_dual_mul_f32 v57, v57, v24 :: v_dual_mul_f32 v102, v59, v33
	v_dual_mul_f32 v59, v59, v32 :: v_dual_mul_f32 v104, v65, v9
	v_dual_mul_f32 v65, v65, v8 :: v_dual_fmac_f32 v94, v48, v6
	v_fma_f32 v48, v48, v7, -v49
	v_mul_f32_e32 v105, v63, v13
	v_mul_f32_e32 v63, v63, v12
	v_fmac_f32_e32 v95, v66, v10
	v_fma_f32 v49, v66, v11, -v67
	v_dual_mul_f32 v83, v83, v28 :: v_dual_fmac_f32 v96, v50, v14
	v_fma_f32 v50, v50, v15, -v51
	v_fmac_f32_e32 v97, v70, v16
	v_fma_f32 v51, v70, v17, -v71
	s_wait_dscnt 0x3
	v_mul_f32_e32 v103, v61, v37
	v_mul_f32_e32 v61, v61, v36
	;; [unrolled: 1-line block ×4, first 2 shown]
	v_fmac_f32_e32 v98, v52, v18
	v_fma_f32 v52, v52, v19, -v53
	v_mul_f32_e32 v110, v81, v27
	v_mul_f32_e32 v81, v81, v26
	v_fmac_f32_e32 v99, v54, v20
	v_fma_f32 v53, v54, v21, -v55
	v_fmac_f32_e32 v100, v56, v24
	v_fma_f32 v54, v56, v25, -v57
	;; [unrolled: 2-line block ×4, first 2 shown]
	v_cvt_f64_f32_e32 v[6:7], v94
	v_cvt_f64_f32_e32 v[8:9], v48
	v_mul_f32_e32 v111, v79, v31
	v_mul_f32_e32 v79, v79, v30
	v_fmac_f32_e32 v105, v62, v12
	v_fma_f32 v59, v62, v13, -v63
	v_cvt_f64_f32_e32 v[10:11], v95
	v_cvt_f64_f32_e32 v[12:13], v49
	s_wait_dscnt 0x2
	v_mul_f32_e32 v106, v73, v43
	v_mul_f32_e32 v73, v73, v42
	s_wait_dscnt 0x1
	v_mul_f32_e32 v109, v75, v91
	v_mul_f32_e32 v112, v85, v35
	v_mul_f32_e32 v85, v85, v34
	v_fmac_f32_e32 v101, v82, v28
	v_fma_f32 v55, v82, v29, -v83
	v_cvt_f64_f32_e32 v[14:15], v96
	v_fmac_f32_e32 v112, v84, v34
	v_cvt_f64_f32_e32 v[16:17], v50
	v_mul_f32_e32 v107, v69, v45
	v_mul_f32_e32 v69, v69, v44
	v_cvt_f64_f32_e32 v[18:19], v97
	v_cvt_f64_f32_e32 v[20:21], v51
	v_fmac_f32_e32 v103, v60, v36
	v_fma_f32 v57, v60, v37, -v61
	v_fmac_f32_e32 v108, v76, v22
	v_fma_f32 v70, v76, v23, -v77
	v_cvt_f64_f32_e32 v[22:23], v98
	v_cvt_f64_f32_e32 v[24:25], v52
	v_mul_f32_e32 v75, v75, v90
	v_fmac_f32_e32 v110, v80, v26
	v_fma_f32 v80, v80, v27, -v81
	v_cvt_f64_f32_e32 v[26:27], v99
	v_cvt_f64_f32_e32 v[28:29], v53
	v_fmac_f32_e32 v111, v78, v30
	v_fma_f32 v82, v78, v31, -v79
	v_cvt_f64_f32_e32 v[30:31], v100
	v_cvt_f64_f32_e32 v[32:33], v54
	v_fmac_f32_e32 v106, v72, v42
	v_fma_f32 v62, v72, v43, -v73
	v_fmac_f32_e32 v109, v74, v90
	v_fma_f32 v90, v84, v35, -v85
	v_cvt_f64_f32_e32 v[34:35], v101
	v_cvt_f64_f32_e32 v[36:37], v55
	v_fmac_f32_e32 v107, v68, v44
	v_fma_f32 v66, v68, v45, -v69
	v_cvt_f64_f32_e32 v[42:43], v102
	v_cvt_f64_f32_e32 v[44:45], v56
	s_wait_dscnt 0x0
	v_mul_f32_e32 v113, v87, v93
	v_mul_f32_e32 v87, v87, v92
	v_cvt_f64_f32_e32 v[48:49], v103
	v_cvt_f64_f32_e32 v[50:51], v57
	v_fma_f32 v74, v74, v91, -v75
	v_cvt_f64_f32_e32 v[52:53], v104
	v_cvt_f64_f32_e32 v[54:55], v58
	;; [unrolled: 1-line block ×8, first 2 shown]
	v_fmac_f32_e32 v113, v86, v92
	v_fma_f32 v92, v86, v93, -v87
	v_cvt_f64_f32_e32 v[68:69], v108
	v_cvt_f64_f32_e32 v[70:71], v70
	;; [unrolled: 1-line block ×12, first 2 shown]
	s_wait_alu 0xfffe
	v_mul_f64_e32 v[6:7], s[2:3], v[6:7]
	v_mul_f64_e32 v[8:9], s[2:3], v[8:9]
	;; [unrolled: 1-line block ×40, first 2 shown]
	v_cvt_f32_f64_e32 v6, v[6:7]
	v_cvt_f32_f64_e32 v7, v[8:9]
	;; [unrolled: 1-line block ×40, first 2 shown]
	v_add_co_u32 v52, vcc_lo, v88, s0
	s_wait_alu 0xfffd
	v_add_co_ci_u32_e32 v53, vcc_lo, s1, v89, vcc_lo
	s_delay_alu instid0(VALU_DEP_2) | instskip(SKIP_1) | instid1(VALU_DEP_2)
	v_add_co_u32 v54, vcc_lo, v52, s0
	s_wait_alu 0xfffd
	v_add_co_ci_u32_e32 v55, vcc_lo, s1, v53, vcc_lo
	s_delay_alu instid0(VALU_DEP_2) | instskip(SKIP_1) | instid1(VALU_DEP_2)
	;; [unrolled: 4-line block ×3, first 2 shown]
	v_add_co_u32 v58, vcc_lo, v56, s0
	s_wait_alu 0xfffd
	v_add_co_ci_u32_e32 v59, vcc_lo, s1, v57, vcc_lo
	s_clause 0x4
	global_store_b64 v[128:129], v[6:7], off
	global_store_b64 v[130:131], v[8:9], off
	global_store_b64 v[132:133], v[10:11], off
	global_store_b64 v[134:135], v[12:13], off
	global_store_b64 v[136:137], v[14:15], off
	global_store_b64 v[138:139], v[16:17], off
	global_store_b64 v[140:141], v[18:19], off
	global_store_b64 v[142:143], v[20:21], off
	global_store_b64 v[144:145], v[22:23], off
	global_store_b64 v[40:41], v[24:25], off
	global_store_b64 v[0:1], v[26:27], off
	global_store_b64 v[2:3], v[28:29], off
	global_store_b64 v[4:5], v[30:31], off
	global_store_b64 v[38:39], v[32:33], off
	global_store_b64 v[46:47], v[34:35], off
	global_store_b64 v[88:89], v[36:37], off
	global_store_b64 v[52:53], v[42:43], off
	global_store_b64 v[54:55], v[44:45], off
	global_store_b64 v[56:57], v[48:49], off
	global_store_b64 v[58:59], v[50:51], off
.LBB0_2:
	s_nop 0
	s_sendmsg sendmsg(MSG_DEALLOC_VGPRS)
	s_endpgm
	.section	.rodata,"a",@progbits
	.p2align	6, 0x0
	.amdhsa_kernel bluestein_single_back_len320_dim1_sp_op_CI_CI
		.amdhsa_group_segment_fixed_size 10240
		.amdhsa_private_segment_fixed_size 0
		.amdhsa_kernarg_size 104
		.amdhsa_user_sgpr_count 2
		.amdhsa_user_sgpr_dispatch_ptr 0
		.amdhsa_user_sgpr_queue_ptr 0
		.amdhsa_user_sgpr_kernarg_segment_ptr 1
		.amdhsa_user_sgpr_dispatch_id 0
		.amdhsa_user_sgpr_private_segment_size 0
		.amdhsa_wavefront_size32 1
		.amdhsa_uses_dynamic_stack 0
		.amdhsa_enable_private_segment 0
		.amdhsa_system_sgpr_workgroup_id_x 1
		.amdhsa_system_sgpr_workgroup_id_y 0
		.amdhsa_system_sgpr_workgroup_id_z 0
		.amdhsa_system_sgpr_workgroup_info 0
		.amdhsa_system_vgpr_workitem_id 0
		.amdhsa_next_free_vgpr 231
		.amdhsa_next_free_sgpr 20
		.amdhsa_reserve_vcc 1
		.amdhsa_float_round_mode_32 0
		.amdhsa_float_round_mode_16_64 0
		.amdhsa_float_denorm_mode_32 3
		.amdhsa_float_denorm_mode_16_64 3
		.amdhsa_fp16_overflow 0
		.amdhsa_workgroup_processor_mode 1
		.amdhsa_memory_ordered 1
		.amdhsa_forward_progress 0
		.amdhsa_round_robin_scheduling 0
		.amdhsa_exception_fp_ieee_invalid_op 0
		.amdhsa_exception_fp_denorm_src 0
		.amdhsa_exception_fp_ieee_div_zero 0
		.amdhsa_exception_fp_ieee_overflow 0
		.amdhsa_exception_fp_ieee_underflow 0
		.amdhsa_exception_fp_ieee_inexact 0
		.amdhsa_exception_int_div_zero 0
	.end_amdhsa_kernel
	.text
.Lfunc_end0:
	.size	bluestein_single_back_len320_dim1_sp_op_CI_CI, .Lfunc_end0-bluestein_single_back_len320_dim1_sp_op_CI_CI
                                        ; -- End function
	.section	.AMDGPU.csdata,"",@progbits
; Kernel info:
; codeLenInByte = 14852
; NumSgprs: 22
; NumVgprs: 231
; ScratchSize: 0
; MemoryBound: 0
; FloatMode: 240
; IeeeMode: 1
; LDSByteSize: 10240 bytes/workgroup (compile time only)
; SGPRBlocks: 2
; VGPRBlocks: 28
; NumSGPRsForWavesPerEU: 22
; NumVGPRsForWavesPerEU: 231
; Occupancy: 6
; WaveLimiterHint : 1
; COMPUTE_PGM_RSRC2:SCRATCH_EN: 0
; COMPUTE_PGM_RSRC2:USER_SGPR: 2
; COMPUTE_PGM_RSRC2:TRAP_HANDLER: 0
; COMPUTE_PGM_RSRC2:TGID_X_EN: 1
; COMPUTE_PGM_RSRC2:TGID_Y_EN: 0
; COMPUTE_PGM_RSRC2:TGID_Z_EN: 0
; COMPUTE_PGM_RSRC2:TIDIG_COMP_CNT: 0
	.text
	.p2alignl 7, 3214868480
	.fill 96, 4, 3214868480
	.type	__hip_cuid_c902daffc7b78d31,@object ; @__hip_cuid_c902daffc7b78d31
	.section	.bss,"aw",@nobits
	.globl	__hip_cuid_c902daffc7b78d31
__hip_cuid_c902daffc7b78d31:
	.byte	0                               ; 0x0
	.size	__hip_cuid_c902daffc7b78d31, 1

	.ident	"AMD clang version 19.0.0git (https://github.com/RadeonOpenCompute/llvm-project roc-6.4.0 25133 c7fe45cf4b819c5991fe208aaa96edf142730f1d)"
	.section	".note.GNU-stack","",@progbits
	.addrsig
	.addrsig_sym __hip_cuid_c902daffc7b78d31
	.amdgpu_metadata
---
amdhsa.kernels:
  - .args:
      - .actual_access:  read_only
        .address_space:  global
        .offset:         0
        .size:           8
        .value_kind:     global_buffer
      - .actual_access:  read_only
        .address_space:  global
        .offset:         8
        .size:           8
        .value_kind:     global_buffer
      - .actual_access:  read_only
        .address_space:  global
        .offset:         16
        .size:           8
        .value_kind:     global_buffer
      - .actual_access:  read_only
        .address_space:  global
        .offset:         24
        .size:           8
        .value_kind:     global_buffer
      - .actual_access:  read_only
        .address_space:  global
        .offset:         32
        .size:           8
        .value_kind:     global_buffer
      - .offset:         40
        .size:           8
        .value_kind:     by_value
      - .address_space:  global
        .offset:         48
        .size:           8
        .value_kind:     global_buffer
      - .address_space:  global
        .offset:         56
        .size:           8
        .value_kind:     global_buffer
      - .address_space:  global
        .offset:         64
        .size:           8
        .value_kind:     global_buffer
      - .address_space:  global
        .offset:         72
        .size:           8
        .value_kind:     global_buffer
      - .offset:         80
        .size:           4
        .value_kind:     by_value
      - .address_space:  global
        .offset:         88
        .size:           8
        .value_kind:     global_buffer
      - .address_space:  global
        .offset:         96
        .size:           8
        .value_kind:     global_buffer
    .group_segment_fixed_size: 10240
    .kernarg_segment_align: 8
    .kernarg_segment_size: 104
    .language:       OpenCL C
    .language_version:
      - 2
      - 0
    .max_flat_workgroup_size: 64
    .name:           bluestein_single_back_len320_dim1_sp_op_CI_CI
    .private_segment_fixed_size: 0
    .sgpr_count:     22
    .sgpr_spill_count: 0
    .symbol:         bluestein_single_back_len320_dim1_sp_op_CI_CI.kd
    .uniform_work_group_size: 1
    .uses_dynamic_stack: false
    .vgpr_count:     231
    .vgpr_spill_count: 0
    .wavefront_size: 32
    .workgroup_processor_mode: 1
amdhsa.target:   amdgcn-amd-amdhsa--gfx1201
amdhsa.version:
  - 1
  - 2
...

	.end_amdgpu_metadata
